;; amdgpu-corpus repo=ROCm/rocFFT kind=compiled arch=gfx1030 opt=O3
	.text
	.amdgcn_target "amdgcn-amd-amdhsa--gfx1030"
	.amdhsa_code_object_version 6
	.protected	bluestein_single_fwd_len1936_dim1_sp_op_CI_CI ; -- Begin function bluestein_single_fwd_len1936_dim1_sp_op_CI_CI
	.globl	bluestein_single_fwd_len1936_dim1_sp_op_CI_CI
	.p2align	8
	.type	bluestein_single_fwd_len1936_dim1_sp_op_CI_CI,@function
bluestein_single_fwd_len1936_dim1_sp_op_CI_CI: ; @bluestein_single_fwd_len1936_dim1_sp_op_CI_CI
; %bb.0:
	s_load_dwordx4 s[8:11], s[4:5], 0x28
	v_mul_u32_u24_e32 v1, 0x175, v0
	v_mov_b32_e32 v67, 0
	s_mov_b32 s0, exec_lo
	v_lshrrev_b32_e32 v1, 16, v1
	v_add_nc_u32_e32 v66, s6, v1
	s_waitcnt lgkmcnt(0)
	v_cmpx_gt_u64_e64 s[8:9], v[66:67]
	s_cbranch_execz .LBB0_31
; %bb.1:
	s_clause 0x1
	s_load_dwordx4 s[0:3], s[4:5], 0x18
	s_load_dwordx2 s[6:7], s[4:5], 0x0
	v_mul_lo_u16 v1, 0xb0, v1
	v_sub_nc_u16 v28, v0, v1
	v_and_b32_e32 v100, 0xffff, v28
	v_lshlrev_b32_e32 v99, 3, v100
	s_waitcnt lgkmcnt(0)
	s_load_dwordx4 s[12:15], s[0:1], 0x0
	s_clause 0x1
	global_load_dwordx2 v[79:80], v99, s[6:7]
	global_load_dwordx2 v[77:78], v99, s[6:7] offset:1408
	v_add_co_u32 v60, s0, s6, v99
	v_add_co_ci_u32_e64 v63, null, s7, 0, s0
	v_add_nc_u32_e32 v29, 0x2200, v99
	v_add_co_u32 v64, vcc_lo, 0x1800, v60
	v_add_co_ci_u32_e32 v65, vcc_lo, 0, v63, vcc_lo
	v_add_co_u32 v0, vcc_lo, 0x2000, v60
	v_add_co_ci_u32_e32 v1, vcc_lo, 0, v63, vcc_lo
	;; [unrolled: 2-line block ×3, first 2 shown]
	s_waitcnt lgkmcnt(0)
	v_mad_u64_u32 v[4:5], null, s14, v66, 0
	v_add_co_u32 v6, vcc_lo, 0x2800, v60
	v_mad_u64_u32 v[8:9], null, s12, v100, 0
	v_add_co_ci_u32_e32 v7, vcc_lo, 0, v63, vcc_lo
	v_add_co_u32 v10, vcc_lo, 0x1000, v60
	v_mad_u64_u32 v[14:15], null, s15, v66, v[5:6]
	s_clause 0x2
	global_load_dwordx2 v[85:86], v[64:65], off offset:1600
	global_load_dwordx2 v[83:84], v[0:1], off offset:960
	;; [unrolled: 1-line block ×3, first 2 shown]
	v_mad_u64_u32 v[0:1], null, s13, v100, v[9:10]
	v_add_co_ci_u32_e32 v11, vcc_lo, 0, v63, vcc_lo
	v_mov_b32_e32 v5, v14
	v_add_co_u32 v12, vcc_lo, 0x3000, v60
	v_add_co_ci_u32_e32 v13, vcc_lo, 0, v63, vcc_lo
	v_mov_b32_e32 v9, v0
	v_lshlrev_b64 v[0:1], 3, v[4:5]
	s_mul_i32 s1, s13, 0x3c8
	s_mul_hi_u32 s7, s12, 0x3c8
	s_mul_i32 s0, s12, 0x3c8
	v_lshlrev_b64 v[2:3], 3, v[8:9]
	s_mul_hi_u32 s9, s12, 0xfffffce8
	v_add_co_u32 v0, vcc_lo, s10, v0
	v_add_co_ci_u32_e32 v1, vcc_lo, s11, v1, vcc_lo
	s_add_i32 s1, s7, s1
	v_add_co_u32 v0, vcc_lo, v0, v2
	v_add_co_ci_u32_e32 v1, vcc_lo, v1, v3, vcc_lo
	s_mul_i32 s8, s13, 0xfffffce8
	s_mul_i32 s6, s12, 0xfffffce8
	s_sub_i32 s7, s9, s12
	s_lshl_b64 s[12:13], s[0:1], 3
	s_add_i32 s7, s7, s8
	v_add_co_u32 v2, vcc_lo, v0, s12
	v_add_co_ci_u32_e32 v3, vcc_lo, s13, v1, vcc_lo
	s_lshl_b64 s[0:1], s[6:7], 3
	global_load_dwordx2 v[67:68], v[10:11], off offset:128
	v_add_co_u32 v4, vcc_lo, v2, s0
	v_add_co_ci_u32_e32 v5, vcc_lo, s1, v3, vcc_lo
	s_clause 0x1
	global_load_dwordx2 v[8:9], v[0:1], off
	global_load_dwordx2 v[14:15], v[2:3], off
	v_add_co_u32 v0, vcc_lo, v4, s12
	v_add_co_ci_u32_e32 v1, vcc_lo, s13, v5, vcc_lo
	s_clause 0x1
	global_load_dwordx2 v[73:74], v[6:7], off offset:320
	global_load_dwordx2 v[69:70], v[6:7], off offset:1728
	v_add_co_u32 v2, vcc_lo, v0, s0
	v_add_co_ci_u32_e32 v3, vcc_lo, s1, v1, vcc_lo
	s_clause 0x1
	global_load_dwordx2 v[4:5], v[4:5], off
	global_load_dwordx2 v[6:7], v[0:1], off
	v_add_co_u32 v0, vcc_lo, v2, s12
	v_add_co_ci_u32_e32 v1, vcc_lo, s13, v3, vcc_lo
	global_load_dwordx2 v[16:17], v[2:3], off
	v_add_co_u32 v2, vcc_lo, v0, s0
	v_add_co_ci_u32_e32 v3, vcc_lo, s1, v1, vcc_lo
	global_load_dwordx2 v[18:19], v[0:1], off
	v_add_co_u32 v0, vcc_lo, v2, s12
	v_add_co_ci_u32_e32 v1, vcc_lo, s13, v3, vcc_lo
	global_load_dwordx2 v[20:21], v[2:3], off
	v_add_co_u32 v2, vcc_lo, v0, s0
	v_add_co_ci_u32_e32 v3, vcc_lo, s1, v1, vcc_lo
	global_load_dwordx2 v[22:23], v[0:1], off
	v_add_co_u32 v0, vcc_lo, v2, s12
	v_add_co_ci_u32_e32 v1, vcc_lo, s13, v3, vcc_lo
	global_load_dwordx2 v[71:72], v[10:11], off offset:1536
	global_load_dwordx2 v[10:11], v[2:3], off
	global_load_dwordx2 v[75:76], v[12:13], off offset:1088
	global_load_dwordx2 v[12:13], v[0:1], off
	s_load_dwordx2 s[6:7], s[4:5], 0x38
	s_load_dwordx4 s[8:11], s[2:3], 0x0
	v_add_nc_u32_e32 v2, 0xa00, v99
	v_cmp_gt_u16_e32 vcc_lo, 0x58, v28
	s_waitcnt vmcnt(13)
	v_mul_f32_e32 v26, v9, v80
	s_waitcnt vmcnt(12)
	v_mul_f32_e32 v24, v15, v86
	v_mul_f32_e32 v25, v14, v86
	;; [unrolled: 1-line block ×3, first 2 shown]
	v_fmac_f32_e32 v26, v8, v79
	v_fmac_f32_e32 v24, v14, v85
	v_fma_f32 v25, v15, v85, -v25
	v_fma_f32 v27, v9, v79, -v27
	s_waitcnt vmcnt(9)
	v_mul_f32_e32 v3, v5, v78
	v_mul_f32_e32 v14, v4, v78
	ds_write_b64 v99, v[24:25] offset:7744
	s_waitcnt vmcnt(8)
	v_mul_f32_e32 v9, v6, v84
	v_fmac_f32_e32 v3, v4, v77
	v_fma_f32 v4, v5, v77, -v14
	v_mul_f32_e32 v5, v7, v84
	s_waitcnt vmcnt(7)
	v_mul_f32_e32 v8, v17, v82
	ds_write2_b64 v99, v[26:27], v[3:4] offset1:176
	v_mul_f32_e32 v4, v16, v82
	v_fmac_f32_e32 v5, v6, v83
	v_fma_f32 v6, v7, v83, -v9
	s_waitcnt vmcnt(6)
	v_mul_f32_e32 v3, v19, v74
	s_waitcnt vmcnt(5)
	v_mul_f32_e32 v14, v21, v68
	v_fma_f32 v9, v17, v81, -v4
	v_mul_f32_e32 v4, v18, v74
	v_mul_f32_e32 v7, v20, v68
	v_fmac_f32_e32 v3, v18, v73
	v_fmac_f32_e32 v8, v16, v81
	s_waitcnt vmcnt(4)
	v_mul_f32_e32 v16, v23, v70
	v_fma_f32 v4, v19, v73, -v4
	s_waitcnt vmcnt(2)
	v_mul_f32_e32 v18, v11, v72
	v_mul_f32_e32 v19, v10, v72
	v_fmac_f32_e32 v14, v20, v67
	v_fma_f32 v15, v21, v67, -v7
	v_mul_f32_e32 v7, v22, v70
	s_waitcnt vmcnt(0)
	v_mul_f32_e32 v20, v13, v76
	v_mul_f32_e32 v21, v12, v76
	v_fmac_f32_e32 v18, v10, v71
	v_fma_f32 v19, v11, v71, -v19
	v_fmac_f32_e32 v16, v22, v69
	v_fma_f32 v17, v23, v69, -v7
	;; [unrolled: 2-line block ×3, first 2 shown]
	v_add_nc_u32_e32 v7, 0x2e00, v99
	ds_write2_b64 v29, v[5:6], v[3:4] offset0:56 offset1:232
	ds_write2_b64 v2, v[8:9], v[14:15] offset0:32 offset1:208
	ds_write_b64 v99, v[18:19] offset:5632
	ds_write2_b64 v7, v[16:17], v[20:21] offset0:24 offset1:200
	s_and_saveexec_b32 s2, vcc_lo
	s_cbranch_execz .LBB0_3
; %bb.2:
	v_add_co_u32 v0, s0, v0, s0
	v_add_co_ci_u32_e64 v1, s0, s1, v1, s0
	v_add_co_u32 v3, s0, 0x3800, v60
	v_add_co_ci_u32_e64 v4, s0, 0, v63, s0
	v_add_co_u32 v5, s0, v0, s12
	v_add_co_ci_u32_e64 v6, s0, s13, v1, s0
	global_load_dwordx2 v[0:1], v[0:1], off
	s_clause 0x1
	global_load_dwordx2 v[7:8], v[64:65], off offset:896
	global_load_dwordx2 v[3:4], v[3:4], off offset:448
	global_load_dwordx2 v[5:6], v[5:6], off
	s_waitcnt vmcnt(2)
	v_mul_f32_e32 v9, v1, v8
	v_mul_f32_e32 v8, v0, v8
	s_waitcnt vmcnt(0)
	v_mul_f32_e32 v11, v6, v4
	v_mul_f32_e32 v4, v5, v4
	v_fmac_f32_e32 v9, v0, v7
	v_fma_f32 v10, v1, v7, -v8
	v_fmac_f32_e32 v11, v5, v3
	v_fma_f32 v12, v6, v3, -v4
	ds_write_b64 v99, v[9:10] offset:7040
	ds_write_b64 v99, v[11:12] offset:14784
.LBB0_3:
	s_or_b32 exec_lo, exec_lo, s2
	v_add_nc_u32_e32 v0, 0x1c00, v99
	v_add_nc_u32_e32 v8, 0x2800, v99
	s_waitcnt lgkmcnt(0)
	s_barrier
	buffer_gl0_inv
	ds_read2_b64 v[4:7], v99 offset1:176
	ds_read2_b64 v[12:15], v0 offset0:72 offset1:248
	ds_read2_b64 v[0:3], v2 offset0:32 offset1:208
	;; [unrolled: 1-line block ×3, first 2 shown]
	ds_read_b64 v[18:19], v99 offset:5632
	ds_read_b64 v[20:21], v99 offset:13376
                                        ; implicit-def: $vgpr22
                                        ; implicit-def: $vgpr16
	s_and_saveexec_b32 s0, vcc_lo
	s_cbranch_execz .LBB0_5
; %bb.4:
	ds_read_b64 v[16:17], v99 offset:7040
	ds_read_b64 v[22:23], v99 offset:14784
.LBB0_5:
	s_or_b32 exec_lo, exec_lo, s0
	s_load_dwordx2 s[2:3], s[4:5], 0x8
	s_waitcnt lgkmcnt(0)
	v_sub_f32_e32 v36, v2, v10
	v_sub_f32_e32 v37, v3, v11
	v_add_co_u32 v29, null, 0xb0, v100
	v_add_co_u32 v28, null, 0x160, v100
	v_sub_f32_e32 v32, v4, v12
	v_lshlrev_b32_e32 v24, 1, v100
	v_sub_f32_e32 v33, v5, v13
	v_add_co_u32 v25, null, 0x370, v100
	v_sub_f32_e32 v14, v6, v14
	v_sub_f32_e32 v15, v7, v15
	;; [unrolled: 1-line block ×4, first 2 shown]
	v_fma_f32 v34, v2, 2.0, -v36
	v_sub_f32_e32 v2, v16, v22
	v_fma_f32 v35, v3, 2.0, -v37
	v_sub_f32_e32 v3, v17, v23
	v_sub_f32_e32 v20, v18, v20
	;; [unrolled: 1-line block ×3, first 2 shown]
	v_fma_f32 v30, v4, 2.0, -v32
	v_fma_f32 v31, v5, 2.0, -v33
	;; [unrolled: 1-line block ×7, first 2 shown]
	v_lshlrev_b32_e32 v103, 4, v100
	v_fma_f32 v1, v17, 2.0, -v3
	v_lshlrev_b32_e32 v26, 1, v29
	v_lshlrev_b32_e32 v104, 4, v29
	;; [unrolled: 1-line block ×4, first 2 shown]
	v_add_nc_u32_e32 v115, 0x420, v24
	v_add_nc_u32_e32 v116, 0x580, v24
	v_lshlrev_b32_e32 v105, 4, v25
	v_lshlrev_b32_e32 v4, 3, v24
	v_fma_f32 v18, v18, 2.0, -v20
	v_fma_f32 v19, v19, 2.0, -v21
	s_barrier
	buffer_gl0_inv
	ds_write_b128 v103, v[30:33]
	ds_write_b128 v104, v[12:15]
	;; [unrolled: 1-line block ×3, first 2 shown]
	ds_write_b128 v4, v[34:37] offset:8448
	ds_write_b128 v4, v[18:21] offset:11264
	s_and_saveexec_b32 s0, vcc_lo
	s_cbranch_execz .LBB0_7
; %bb.6:
	ds_write_b128 v105, v[0:3]
.LBB0_7:
	s_or_b32 exec_lo, exec_lo, s0
	v_add_nc_u32_e32 v4, 0x1c00, v99
	v_add_nc_u32_e32 v5, 0xa00, v99
	;; [unrolled: 1-line block ×3, first 2 shown]
	s_waitcnt lgkmcnt(0)
	s_barrier
	buffer_gl0_inv
	ds_read2_b64 v[8:11], v99 offset1:176
	ds_read2_b64 v[16:19], v4 offset0:72 offset1:248
	ds_read2_b64 v[4:7], v5 offset0:32 offset1:208
	;; [unrolled: 1-line block ×3, first 2 shown]
	ds_read_b64 v[20:21], v99 offset:5632
	ds_read_b64 v[22:23], v99 offset:13376
	s_and_saveexec_b32 s0, vcc_lo
	s_cbranch_execz .LBB0_9
; %bb.8:
	ds_read_b64 v[0:1], v99 offset:7040
	ds_read_b64 v[2:3], v99 offset:14784
.LBB0_9:
	s_or_b32 exec_lo, exec_lo, s0
	v_and_b32_e32 v101, 1, v100
	v_lshlrev_b32_e32 v107, 1, v25
	v_lshlrev_b32_e32 v30, 3, v101
	v_and_or_b32 v24, 0x1fc, v24, v101
	v_and_or_b32 v25, 0x3fc, v26, v101
	;; [unrolled: 1-line block ×4, first 2 shown]
	global_load_dwordx2 v[89:90], v30, s[2:3]
	v_and_or_b32 v30, 0x7fc, v116, v101
	v_lshlrev_b32_e32 v113, 3, v24
	v_lshlrev_b32_e32 v112, 3, v25
	;; [unrolled: 1-line block ×5, first 2 shown]
	s_waitcnt vmcnt(0) lgkmcnt(0)
	s_barrier
	buffer_gl0_inv
	v_mul_f32_e32 v24, v17, v90
	v_mul_f32_e32 v25, v16, v90
	;; [unrolled: 1-line block ×12, first 2 shown]
	v_fma_f32 v16, v16, v89, -v24
	v_fmac_f32_e32 v25, v17, v89
	v_fma_f32 v22, v22, v89, -v34
	v_fmac_f32_e32 v35, v23, v89
	;; [unrolled: 2-line block ×6, first 2 shown]
	v_sub_f32_e32 v2, v8, v16
	v_sub_f32_e32 v3, v9, v25
	;; [unrolled: 1-line block ×12, first 2 shown]
	v_fma_f32 v8, v8, 2.0, -v2
	v_fma_f32 v9, v9, 2.0, -v3
	;; [unrolled: 1-line block ×12, first 2 shown]
	ds_write2_b64 v113, v[8:9], v[2:3] offset1:2
	ds_write2_b64 v112, v[10:11], v[12:13] offset1:2
	;; [unrolled: 1-line block ×5, first 2 shown]
	s_and_saveexec_b32 s0, vcc_lo
	s_cbranch_execz .LBB0_11
; %bb.10:
	v_and_or_b32 v0, 0x7fc, v107, v101
	v_lshlrev_b32_e32 v0, 3, v0
	ds_write2_b64 v0, v[26:27], v[24:25] offset1:2
.LBB0_11:
	s_or_b32 exec_lo, exec_lo, s0
	v_add_nc_u32_e32 v0, 0xe00, v99
	v_add_nc_u32_e32 v1, 0x1c00, v99
	;; [unrolled: 1-line block ×3, first 2 shown]
	s_waitcnt lgkmcnt(0)
	s_barrier
	buffer_gl0_inv
	ds_read2_b64 v[4:7], v99 offset1:176
	ds_read2_b64 v[16:19], v0 offset0:36 offset1:212
	ds_read2_b64 v[12:15], v1 offset0:72 offset1:248
	;; [unrolled: 1-line block ×3, first 2 shown]
	v_cmp_gt_u16_e64 s0, 0x84, v100
	s_and_saveexec_b32 s1, s0
	s_cbranch_execz .LBB0_13
; %bb.12:
	ds_read_b64 v[20:21], v99 offset:2816
	ds_read_b64 v[22:23], v99 offset:6688
	;; [unrolled: 1-line block ×4, first 2 shown]
.LBB0_13:
	s_or_b32 exec_lo, exec_lo, s1
	v_and_b32_e32 v102, 3, v100
	v_lshlrev_b32_e32 v29, 2, v29
	v_lshlrev_b32_e32 v111, 2, v28
	v_mad_u64_u32 v[30:31], null, v102, 24, s[2:3]
	v_and_or_b32 v29, 0x7f0, v29, v102
	s_clause 0x1
	global_load_dwordx4 v[0:3], v[30:31], off offset:16
	global_load_dwordx2 v[87:88], v[30:31], off offset:32
	v_lshlrev_b32_e32 v30, 2, v100
	v_lshlrev_b32_e32 v114, 3, v29
	s_waitcnt vmcnt(0) lgkmcnt(0)
	s_barrier
	buffer_gl0_inv
	v_and_or_b32 v30, 0x3f0, v30, v102
	v_lshlrev_b32_e32 v117, 3, v30
	v_mul_f32_e32 v29, v17, v1
	v_mul_f32_e32 v30, v16, v1
	;; [unrolled: 1-line block ×15, first 2 shown]
	v_fma_f32 v16, v16, v0, -v29
	v_fmac_f32_e32 v30, v17, v0
	v_fma_f32 v12, v12, v2, -v31
	v_fmac_f32_e32 v32, v13, v2
	;; [unrolled: 2-line block ×3, first 2 shown]
	v_mul_f32_e32 v28, v22, v1
	v_mul_f32_e32 v45, v24, v88
	v_fma_f32 v17, v18, v0, -v35
	v_fmac_f32_e32 v36, v19, v0
	v_fma_f32 v9, v14, v2, -v37
	v_fmac_f32_e32 v38, v15, v2
	;; [unrolled: 2-line block ×3, first 2 shown]
	v_mul_f32_e32 v43, v26, v3
	v_fma_f32 v8, v22, v0, -v41
	v_fma_f32 v11, v26, v2, -v42
	;; [unrolled: 1-line block ×3, first 2 shown]
	v_sub_f32_e32 v15, v4, v12
	v_sub_f32_e32 v18, v5, v32
	;; [unrolled: 1-line block ×4, first 2 shown]
	v_fmac_f32_e32 v28, v23, v0
	v_fmac_f32_e32 v45, v25, v87
	v_sub_f32_e32 v22, v6, v9
	v_sub_f32_e32 v23, v7, v38
	;; [unrolled: 1-line block ×4, first 2 shown]
	v_fmac_f32_e32 v43, v27, v2
	v_sub_f32_e32 v9, v20, v11
	v_sub_f32_e32 v11, v8, v14
	v_fma_f32 v26, v4, 2.0, -v15
	v_fma_f32 v27, v5, 2.0, -v18
	;; [unrolled: 1-line block ×4, first 2 shown]
	v_sub_f32_e32 v4, v15, v19
	v_add_f32_e32 v5, v18, v13
	v_fma_f32 v19, v6, 2.0, -v22
	v_fma_f32 v29, v7, 2.0, -v23
	;; [unrolled: 1-line block ×4, first 2 shown]
	v_sub_f32_e32 v10, v21, v43
	v_sub_f32_e32 v12, v28, v45
	;; [unrolled: 1-line block ×5, first 2 shown]
	v_add_f32_e32 v7, v23, v24
	v_fma_f32 v16, v18, 2.0, -v5
	v_sub_f32_e32 v17, v19, v17
	v_sub_f32_e32 v18, v29, v30
	;; [unrolled: 1-line block ×3, first 2 shown]
	v_add_f32_e32 v62, v10, v11
	v_fma_f32 v15, v15, 2.0, -v4
	v_fma_f32 v24, v26, 2.0, -v13
	;; [unrolled: 1-line block ×7, first 2 shown]
	ds_write2_b64 v117, v[13:14], v[4:5] offset0:8 offset1:12
	ds_write2_b64 v117, v[24:25], v[15:16] offset1:4
	ds_write2_b64 v114, v[26:27], v[22:23] offset1:4
	ds_write2_b64 v114, v[17:18], v[6:7] offset0:8 offset1:12
	s_and_saveexec_b32 s1, s0
	s_cbranch_execz .LBB0_15
; %bb.14:
	v_fma_f32 v13, v21, 2.0, -v10
	v_fma_f32 v4, v28, 2.0, -v12
	v_fma_f32 v12, v20, 2.0, -v9
	v_fma_f32 v6, v8, 2.0, -v11
	v_and_or_b32 v8, 0xff0, v111, v102
	v_fma_f32 v7, v10, 2.0, -v62
	v_sub_f32_e32 v5, v13, v4
	v_sub_f32_e32 v4, v12, v6
	v_fma_f32 v6, v9, 2.0, -v61
	v_lshlrev_b32_e32 v10, 3, v8
	v_fma_f32 v9, v13, 2.0, -v5
	v_fma_f32 v8, v12, 2.0, -v4
	ds_write2_b64 v10, v[8:9], v[6:7] offset1:4
	ds_write2_b64 v10, v[4:5], v[61:62] offset0:8 offset1:12
.LBB0_15:
	s_or_b32 exec_lo, exec_lo, s1
	v_and_b32_e32 v46, 15, v100
	s_waitcnt lgkmcnt(0)
	s_barrier
	buffer_gl0_inv
	v_add_nc_u32_e32 v95, 0xa00, v99
	v_mad_u64_u32 v[12:13], null, 0x50, v46, s[2:3]
	v_add_nc_u32_e32 v96, 0x1400, v99
	v_lshrrev_b32_e32 v36, 4, v100
	v_add_nc_u32_e32 v97, 0x2000, v99
	v_add_nc_u32_e32 v98, 0x2c00, v99
	s_clause 0x4
	global_load_dwordx4 v[20:23], v[12:13], off offset:112
	global_load_dwordx4 v[16:19], v[12:13], off offset:128
	;; [unrolled: 1-line block ×5, first 2 shown]
	ds_read2_b64 v[24:27], v99 offset1:176
	ds_read2_b64 v[28:31], v95 offset0:32 offset1:208
	ds_read2_b64 v[32:35], v96 offset0:64 offset1:240
	v_mul_u32_u24_e32 v47, 0xb0, v36
	ds_read2_b64 v[36:39], v97 offset0:32 offset1:208
	ds_read_b64 v[44:45], v99 offset:14080
	ds_read2_b64 v[40:43], v98 offset1:176
	s_waitcnt vmcnt(0) lgkmcnt(0)
	s_barrier
	buffer_gl0_inv
	v_or_b32_e32 v48, v47, v46
	v_mad_u64_u32 v[46:47], null, 0x50, v100, s[2:3]
	v_lshlrev_b32_e32 v118, 3, v48
	v_mul_f32_e32 v48, v27, v21
	v_mul_f32_e32 v49, v26, v21
	;; [unrolled: 1-line block ×10, first 2 shown]
	v_fma_f32 v26, v26, v20, -v48
	v_fmac_f32_e32 v49, v27, v20
	v_mul_f32_e32 v53, v30, v17
	v_mul_f32_e32 v54, v33, v19
	;; [unrolled: 1-line block ×10, first 2 shown]
	v_fma_f32 v27, v28, v22, -v50
	v_fmac_f32_e32 v51, v29, v22
	v_fma_f32 v28, v30, v16, -v52
	v_fma_f32 v30, v34, v8, -v56
	v_fmac_f32_e32 v57, v35, v8
	v_fma_f32 v42, v42, v12, -v119
	v_fma_f32 v44, v44, v14, -v121
	v_fmac_f32_e32 v122, v45, v14
	v_add_f32_e32 v34, v24, v26
	v_add_f32_e32 v35, v25, v49
	v_fmac_f32_e32 v53, v31, v16
	v_fma_f32 v29, v32, v18, -v54
	v_fmac_f32_e32 v55, v33, v18
	v_fma_f32 v31, v36, v10, -v58
	;; [unrolled: 2-line block ×4, first 2 shown]
	v_fmac_f32_e32 v94, v41, v6
	v_fmac_f32_e32 v120, v43, v12
	v_add_f32_e32 v36, v26, v44
	v_sub_f32_e32 v26, v26, v44
	v_sub_f32_e32 v38, v49, v122
	v_add_f32_e32 v39, v27, v42
	v_sub_f32_e32 v41, v27, v42
	v_add_f32_e32 v27, v34, v27
	v_add_f32_e32 v34, v35, v51
	;; [unrolled: 1-line block ×4, first 2 shown]
	v_sub_f32_e32 v43, v51, v120
	v_sub_f32_e32 v45, v53, v94
	v_add_f32_e32 v48, v28, v33
	v_sub_f32_e32 v49, v28, v33
	v_sub_f32_e32 v52, v55, v92
	;; [unrolled: 1-line block ×5, first 2 shown]
	v_mul_f32_e32 v35, 0xbf0a6770, v38
	v_mul_f32_e32 v51, 0xbf0a6770, v26
	v_mul_f32_e32 v123, 0xbf68dda4, v38
	v_mul_f32_e32 v124, 0xbf68dda4, v26
	v_mul_f32_e32 v125, 0xbf7d64f0, v38
	v_mul_f32_e32 v126, 0xbf7d64f0, v26
	v_mul_f32_e32 v127, 0xbf4178ce, v38
	v_mul_f32_e32 v128, 0xbf4178ce, v26
	v_mul_f32_e32 v26, 0xbe903f40, v26
	v_add_f32_e32 v27, v27, v28
	v_add_f32_e32 v28, v34, v53
	v_mul_f32_e32 v38, 0xbe903f40, v38
	v_add_f32_e32 v50, v53, v94
	v_add_f32_e32 v54, v29, v32
	;; [unrolled: 1-line block ×5, first 2 shown]
	v_mul_f32_e32 v129, 0xbf68dda4, v43
	v_mul_f32_e32 v130, 0xbf68dda4, v41
	;; [unrolled: 1-line block ×40, first 2 shown]
	v_fma_f32 v161, 0x3f575c64, v36, -v35
	v_fmamk_f32 v162, v37, 0x3f575c64, v51
	v_fmac_f32_e32 v35, 0x3f575c64, v36
	v_fma_f32 v51, 0x3f575c64, v37, -v51
	v_fma_f32 v163, 0x3ed4b147, v36, -v123
	v_fmamk_f32 v164, v37, 0x3ed4b147, v124
	v_fmac_f32_e32 v123, 0x3ed4b147, v36
	v_fma_f32 v124, 0x3ed4b147, v37, -v124
	;; [unrolled: 4-line block ×4, first 2 shown]
	v_fmamk_f32 v170, v37, 0xbf75a155, v26
	v_fma_f32 v26, 0xbf75a155, v37, -v26
	v_add_f32_e32 v27, v27, v29
	v_add_f32_e32 v28, v28, v55
	v_fma_f32 v169, 0xbf75a155, v36, -v38
	v_fmac_f32_e32 v38, 0xbf75a155, v36
	v_fma_f32 v36, 0x3ed4b147, v39, -v129
	v_fmamk_f32 v37, v40, 0x3ed4b147, v130
	v_fmac_f32_e32 v129, 0x3ed4b147, v39
	v_fma_f32 v130, 0x3ed4b147, v40, -v130
	v_fma_f32 v171, 0xbf27a4f4, v39, -v131
	v_fmamk_f32 v172, v40, 0xbf27a4f4, v132
	v_fmac_f32_e32 v131, 0xbf27a4f4, v39
	v_fma_f32 v132, 0xbf27a4f4, v40, -v132
	v_fma_f32 v173, 0xbf75a155, v39, -v133
	v_fmamk_f32 v174, v40, 0xbf75a155, v134
	v_fmac_f32_e32 v133, 0xbf75a155, v39
	v_fma_f32 v134, 0xbf75a155, v40, -v134
	v_fma_f32 v175, 0xbe11bafb, v39, -v135
	v_fmamk_f32 v176, v40, 0xbe11bafb, v136
	v_fmac_f32_e32 v135, 0xbe11bafb, v39
	v_fma_f32 v136, 0xbe11bafb, v40, -v136
	v_fma_f32 v177, 0x3f575c64, v39, -v43
	v_fmac_f32_e32 v43, 0x3f575c64, v39
	v_fmamk_f32 v39, v40, 0x3f575c64, v41
	v_fma_f32 v40, 0x3f575c64, v40, -v41
	v_fma_f32 v41, 0xbe11bafb, v48, -v137
	v_fmac_f32_e32 v137, 0xbe11bafb, v48
	v_fma_f32 v178, 0xbf75a155, v48, -v138
	v_fmac_f32_e32 v138, 0xbf75a155, v48
	v_fma_f32 v179, 0x3ed4b147, v48, -v139
	v_fmac_f32_e32 v139, 0x3ed4b147, v48
	v_fma_f32 v180, 0x3f575c64, v48, -v140
	v_fmac_f32_e32 v140, 0x3f575c64, v48
	v_fma_f32 v181, 0xbf27a4f4, v48, -v45
	v_fmac_f32_e32 v45, 0xbf27a4f4, v48
	v_fmamk_f32 v34, v50, 0xbe11bafb, v141
	v_fma_f32 v48, 0xbe11bafb, v50, -v141
	v_fmamk_f32 v53, v50, 0xbf75a155, v142
	v_fma_f32 v141, 0xbf75a155, v50, -v142
	v_fmamk_f32 v142, v50, 0x3ed4b147, v143
	v_fma_f32 v143, 0x3ed4b147, v50, -v143
	v_fmamk_f32 v182, v50, 0x3f575c64, v144
	v_fma_f32 v144, 0x3f575c64, v50, -v144
	v_fmamk_f32 v183, v50, 0xbf27a4f4, v49
	v_fma_f32 v49, 0xbf27a4f4, v50, -v49
	v_fma_f32 v50, 0xbf27a4f4, v54, -v145
	v_fmac_f32_e32 v145, 0xbf27a4f4, v54
	v_fma_f32 v184, 0xbe11bafb, v54, -v146
	v_fmac_f32_e32 v146, 0xbe11bafb, v54
	v_fma_f32 v185, 0x3f575c64, v54, -v147
	v_fmac_f32_e32 v147, 0x3f575c64, v54
	v_fma_f32 v186, 0xbf75a155, v54, -v148
	v_fmac_f32_e32 v148, 0xbf75a155, v54
	v_fma_f32 v187, 0x3ed4b147, v54, -v52
	v_fmac_f32_e32 v52, 0x3ed4b147, v54
	v_fmamk_f32 v54, v58, 0xbf27a4f4, v149
	v_fma_f32 v149, 0xbf27a4f4, v58, -v149
	v_fmamk_f32 v188, v58, 0xbe11bafb, v150
	v_fma_f32 v150, 0xbe11bafb, v58, -v150
	v_fmamk_f32 v189, v58, 0x3f575c64, v151
	v_fma_f32 v151, 0x3f575c64, v58, -v151
	v_fmamk_f32 v190, v58, 0xbf75a155, v152
	v_fma_f32 v152, 0xbf75a155, v58, -v152
	;; [unrolled: 20-line block ×3, first 2 shown]
	v_fmamk_f32 v199, v121, 0xbe11bafb, v119
	v_fma_f32 v119, 0xbe11bafb, v121, -v119
	v_add_f32_e32 v121, v24, v161
	v_add_f32_e32 v161, v25, v162
	;; [unrolled: 1-line block ×110, first 2 shown]
	ds_write2_b64 v118, v[28:29], v[32:33] offset0:32 offset1:48
	v_add_f32_e32 v28, v45, v44
	v_add_f32_e32 v29, v48, v122
	ds_write2_b64 v118, v[36:37], v[40:41] offset0:64 offset1:80
	ds_write2_b64 v118, v[42:43], v[38:39] offset0:96 offset1:112
	;; [unrolled: 1-line block ×3, first 2 shown]
	ds_write_b64 v118, v[26:27] offset:1280
	ds_write2_b64 v118, v[28:29], v[24:25] offset1:16
	s_waitcnt lgkmcnt(0)
	s_barrier
	buffer_gl0_inv
	s_clause 0x4
	global_load_dwordx4 v[40:43], v[46:47], off offset:1392
	global_load_dwordx4 v[36:39], v[46:47], off offset:1408
	;; [unrolled: 1-line block ×5, first 2 shown]
	ds_read2_b64 v[44:47], v99 offset1:176
	ds_read2_b64 v[56:59], v95 offset0:32 offset1:208
	ds_read2_b64 v[52:55], v96 offset0:64 offset1:240
	;; [unrolled: 1-line block ×3, first 2 shown]
	ds_read2_b64 v[119:122], v98 offset1:176
	ds_read_b64 v[93:94], v99 offset:14080
	v_add_co_u32 v91, s1, 0x3800, v60
	v_add_co_ci_u32_e64 v92, s1, 0, v63, s1
	s_waitcnt vmcnt(4) lgkmcnt(5)
	v_mul_f32_e32 v123, v47, v41
	v_mul_f32_e32 v124, v46, v41
	s_waitcnt vmcnt(3) lgkmcnt(4)
	v_mul_f32_e32 v128, v58, v37
	v_mul_f32_e32 v125, v57, v43
	;; [unrolled: 3-line block ×3, first 2 shown]
	v_mul_f32_e32 v126, v56, v43
	v_mul_f32_e32 v127, v59, v37
	;; [unrolled: 1-line block ×14, first 2 shown]
	v_fma_f32 v46, v46, v40, -v123
	v_fmac_f32_e32 v124, v47, v40
	v_fmac_f32_e32 v128, v59, v36
	;; [unrolled: 1-line block ×3, first 2 shown]
	v_fma_f32 v59, v93, v34, -v141
	v_fma_f32 v47, v56, v42, -v125
	v_fmac_f32_e32 v126, v57, v42
	v_fma_f32 v56, v58, v36, -v127
	v_fma_f32 v52, v52, v38, -v129
	v_fmac_f32_e32 v130, v53, v38
	v_fma_f32 v53, v54, v28, -v131
	v_fmac_f32_e32 v132, v55, v28
	;; [unrolled: 2-line block ×6, first 2 shown]
	v_sub_f32_e32 v51, v124, v142
	v_sub_f32_e32 v54, v46, v59
	v_add_f32_e32 v55, v46, v59
	v_add_f32_e32 v46, v44, v46
	;; [unrolled: 1-line block ×4, first 2 shown]
	v_sub_f32_e32 v94, v126, v140
	v_add_f32_e32 v119, v47, v57
	v_sub_f32_e32 v120, v47, v57
	v_sub_f32_e32 v122, v128, v138
	;; [unrolled: 1-line block ×7, first 2 shown]
	v_mul_f32_e32 v143, 0xbf0a6770, v51
	v_mul_f32_e32 v144, 0xbf0a6770, v54
	v_add_f32_e32 v46, v46, v47
	v_add_f32_e32 v47, v93, v126
	;; [unrolled: 1-line block ×9, first 2 shown]
	v_mul_f32_e32 v145, 0xbf68dda4, v51
	v_mul_f32_e32 v146, 0xbf68dda4, v54
	v_mul_f32_e32 v147, 0xbf7d64f0, v51
	v_mul_f32_e32 v148, 0xbf7d64f0, v54
	v_mul_f32_e32 v149, 0xbf4178ce, v51
	v_mul_f32_e32 v150, 0xbf4178ce, v54
	v_mul_f32_e32 v51, 0xbe903f40, v51
	v_mul_f32_e32 v54, 0xbe903f40, v54
	v_mul_f32_e32 v151, 0xbf68dda4, v94
	v_mul_f32_e32 v152, 0xbf68dda4, v120
	v_mul_f32_e32 v153, 0xbf7d64f0, v122
	v_mul_f32_e32 v154, 0xbf7d64f0, v124
	v_mul_f32_e32 v155, 0xbf4178ce, v127
	v_mul_f32_e32 v156, 0xbf4178ce, v131
	v_mul_f32_e32 v157, 0xbe903f40, v135
	v_mul_f32_e32 v158, 0xbe903f40, v139
	v_mul_f32_e32 v93, 0xbf4178ce, v94
	v_mul_f32_e32 v126, 0x3e903f40, v94
	v_mul_f32_e32 v159, 0x3f7d64f0, v94
	v_mul_f32_e32 v94, 0x3f0a6770, v94
	v_mul_f32_e32 v160, 0xbf4178ce, v120
	v_mul_f32_e32 v161, 0x3e903f40, v120
	v_mul_f32_e32 v162, 0x3f7d64f0, v120
	v_mul_f32_e32 v120, 0x3f0a6770, v120
	v_mul_f32_e32 v163, 0x3e903f40, v122
	v_mul_f32_e32 v164, 0x3f68dda4, v122
	v_mul_f32_e32 v165, 0xbf0a6770, v122
	v_mul_f32_e32 v122, 0xbf4178ce, v122
	v_mul_f32_e32 v166, 0x3e903f40, v124
	v_mul_f32_e32 v167, 0x3f68dda4, v124
	v_mul_f32_e32 v168, 0xbf0a6770, v124
	v_mul_f32_e32 v124, 0xbf4178ce, v124
	v_mul_f32_e32 v169, 0x3f7d64f0, v127
	v_mul_f32_e32 v170, 0xbf0a6770, v127
	v_mul_f32_e32 v171, 0xbe903f40, v127
	v_mul_f32_e32 v127, 0x3f68dda4, v127
	v_mul_f32_e32 v172, 0x3f7d64f0, v131
	v_mul_f32_e32 v173, 0xbf0a6770, v131
	v_mul_f32_e32 v174, 0xbe903f40, v131
	v_mul_f32_e32 v131, 0x3f68dda4, v131
	v_mul_f32_e32 v175, 0x3f0a6770, v135
	v_mul_f32_e32 v176, 0xbf4178ce, v135
	v_mul_f32_e32 v177, 0x3f68dda4, v135
	v_mul_f32_e32 v135, 0xbf7d64f0, v135
	v_mul_f32_e32 v178, 0x3f0a6770, v139
	v_mul_f32_e32 v179, 0xbf4178ce, v139
	v_mul_f32_e32 v180, 0x3f68dda4, v139
	v_mul_f32_e32 v139, 0xbf7d64f0, v139
	v_fma_f32 v181, 0x3f575c64, v55, -v143
	v_fmamk_f32 v182, v58, 0x3f575c64, v144
	v_fma_f32 v144, 0x3f575c64, v58, -v144
	v_add_f32_e32 v46, v46, v56
	v_add_f32_e32 v47, v47, v128
	v_fmac_f32_e32 v143, 0x3f575c64, v55
	v_fma_f32 v183, 0x3ed4b147, v55, -v145
	v_fmamk_f32 v184, v58, 0x3ed4b147, v146
	v_fmac_f32_e32 v145, 0x3ed4b147, v55
	v_fma_f32 v146, 0x3ed4b147, v58, -v146
	v_fma_f32 v185, 0xbe11bafb, v55, -v147
	v_fmac_f32_e32 v147, 0xbe11bafb, v55
	v_fma_f32 v186, 0xbf27a4f4, v55, -v149
	v_fmac_f32_e32 v149, 0xbf27a4f4, v55
	;; [unrolled: 2-line block ×3, first 2 shown]
	v_fmamk_f32 v55, v58, 0xbe11bafb, v148
	v_fma_f32 v148, 0xbe11bafb, v58, -v148
	v_fmamk_f32 v188, v58, 0xbf27a4f4, v150
	v_fma_f32 v150, 0xbf27a4f4, v58, -v150
	;; [unrolled: 2-line block ×3, first 2 shown]
	v_fma_f32 v58, 0x3ed4b147, v119, -v151
	v_fmamk_f32 v190, v121, 0x3ed4b147, v152
	v_fma_f32 v191, 0xbe11bafb, v123, -v153
	v_fmamk_f32 v192, v125, 0xbe11bafb, v154
	;; [unrolled: 2-line block ×4, first 2 shown]
	v_fmac_f32_e32 v151, 0x3ed4b147, v119
	v_fma_f32 v152, 0x3ed4b147, v121, -v152
	v_fmac_f32_e32 v153, 0xbe11bafb, v123
	v_fma_f32 v154, 0xbe11bafb, v125, -v154
	;; [unrolled: 2-line block ×4, first 2 shown]
	v_fma_f32 v56, 0xbf27a4f4, v119, -v93
	v_fmac_f32_e32 v93, 0xbf27a4f4, v119
	v_fma_f32 v128, 0xbf75a155, v119, -v126
	v_fmac_f32_e32 v126, 0xbf75a155, v119
	v_fma_f32 v197, 0xbe11bafb, v119, -v159
	v_fmac_f32_e32 v159, 0xbe11bafb, v119
	v_fma_f32 v198, 0x3f575c64, v119, -v94
	v_fmac_f32_e32 v94, 0x3f575c64, v119
	v_fmamk_f32 v119, v121, 0xbf27a4f4, v160
	v_fma_f32 v160, 0xbf27a4f4, v121, -v160
	v_fmamk_f32 v199, v121, 0xbf75a155, v161
	v_fma_f32 v161, 0xbf75a155, v121, -v161
	v_fmamk_f32 v200, v121, 0xbe11bafb, v162
	v_fma_f32 v162, 0xbe11bafb, v121, -v162
	v_fmamk_f32 v201, v121, 0x3f575c64, v120
	v_fma_f32 v120, 0x3f575c64, v121, -v120
	v_fma_f32 v121, 0xbf75a155, v123, -v163
	v_fmac_f32_e32 v163, 0xbf75a155, v123
	v_fma_f32 v202, 0x3ed4b147, v123, -v164
	v_fmac_f32_e32 v164, 0x3ed4b147, v123
	v_fma_f32 v203, 0x3f575c64, v123, -v165
	v_fmac_f32_e32 v165, 0x3f575c64, v123
	v_fma_f32 v204, 0xbf27a4f4, v123, -v122
	v_fmac_f32_e32 v122, 0xbf27a4f4, v123
	v_fmamk_f32 v123, v125, 0xbf75a155, v166
	v_fma_f32 v166, 0xbf75a155, v125, -v166
	v_fmamk_f32 v205, v125, 0x3ed4b147, v167
	v_fma_f32 v167, 0x3ed4b147, v125, -v167
	v_fmamk_f32 v206, v125, 0x3f575c64, v168
	v_fma_f32 v168, 0x3f575c64, v125, -v168
	v_fmamk_f32 v207, v125, 0xbf27a4f4, v124
	v_fma_f32 v124, 0xbf27a4f4, v125, -v124
	;; [unrolled: 16-line block ×4, first 2 shown]
	v_add_f32_e32 v141, v44, v181
	v_add_f32_e32 v144, v45, v144
	;; [unrolled: 1-line block ×114, first 2 shown]
	ds_write2_b64 v99, v[119:120], v[44:45] offset1:176
	ds_write2_b64 v95, v[46:47], v[50:51] offset0:32 offset1:208
	ds_write2_b64 v96, v[54:55], v[58:59] offset0:64 offset1:240
	;; [unrolled: 1-line block ×3, first 2 shown]
	ds_write2_b64 v98, v[52:53], v[48:49] offset1:176
	ds_write_b64 v99, v[93:94] offset:14080
	s_waitcnt lgkmcnt(0)
	s_barrier
	buffer_gl0_inv
	global_load_dwordx2 v[50:51], v[91:92], off offset:1152
	v_add_co_u32 v44, s1, 0x3c80, v60
	v_add_co_ci_u32_e64 v45, s1, 0, v63, s1
	v_add_co_u32 v46, s1, 0x5000, v60
	v_add_co_ci_u32_e64 v47, s1, 0, v63, s1
	;; [unrolled: 2-line block ×5, first 2 shown]
	s_clause 0x1
	global_load_dwordx2 v[58:59], v[44:45], off offset:1408
	global_load_dwordx2 v[96:97], v[46:47], off offset:640
	v_add_co_u32 v46, s1, 0x4000, v60
	v_add_co_ci_u32_e64 v47, s1, 0, v63, s1
	global_load_dwordx2 v[127:128], v[48:49], off offset:192
	v_add_co_u32 v48, s1, 0x4800, v60
	v_add_co_ci_u32_e64 v49, s1, 0, v63, s1
	s_clause 0x1
	global_load_dwordx2 v[129:130], v[54:55], off offset:704
	global_load_dwordx2 v[131:132], v[52:53], off offset:64
	v_add_co_u32 v54, s1, 0x6800, v60
	v_add_co_ci_u32_e64 v55, s1, 0, v63, s1
	s_clause 0x3
	global_load_dwordx2 v[133:134], v[46:47], off offset:1920
	global_load_dwordx2 v[135:136], v[52:53], off offset:1472
	;; [unrolled: 1-line block ×4, first 2 shown]
	ds_read2_b64 v[46:49], v99 offset1:176
	ds_read_b64 v[141:142], v99 offset:5632
	ds_read_b64 v[143:144], v99 offset:13376
	v_add_nc_u32_e32 v60, 0x1000, v99
	s_waitcnt vmcnt(9) lgkmcnt(2)
	v_mul_f32_e32 v53, v47, v51
	v_mul_f32_e32 v52, v46, v51
	v_fma_f32 v51, v46, v50, -v53
	v_fmac_f32_e32 v52, v47, v50
	v_add_nc_u32_e32 v46, 0x1c00, v99
	v_add_nc_u32_e32 v53, 0x2800, v99
	ds_write_b64 v99, v[51:52]
	ds_read2_b64 v[54:57], v46 offset0:72 offset1:248
	ds_read2_b64 v[119:122], v95 offset0:32 offset1:208
	;; [unrolled: 1-line block ×3, first 2 shown]
	v_add_nc_u32_e32 v52, 0x400, v99
	s_waitcnt vmcnt(8)
	v_mul_f32_e32 v47, v49, v59
	v_mul_f32_e32 v51, v48, v59
	s_waitcnt vmcnt(7) lgkmcnt(5)
	v_mul_f32_e32 v63, v142, v97
	v_mul_f32_e32 v59, v141, v97
	v_fma_f32 v50, v48, v58, -v47
	s_waitcnt vmcnt(6) lgkmcnt(4)
	v_mul_f32_e32 v98, v144, v128
	v_fmac_f32_e32 v51, v49, v58
	v_fma_f32 v58, v141, v96, -v63
	v_fmac_f32_e32 v59, v142, v96
	v_mul_f32_e32 v97, v143, v128
	v_fma_f32 v96, v143, v127, -v98
	s_waitcnt vmcnt(5) lgkmcnt(2)
	v_mul_f32_e32 v47, v55, v130
	v_mul_f32_e32 v48, v54, v130
	s_waitcnt vmcnt(4)
	v_mul_f32_e32 v49, v57, v132
	v_mul_f32_e32 v130, v56, v132
	s_waitcnt vmcnt(3) lgkmcnt(1)
	v_mul_f32_e32 v63, v120, v134
	v_mul_f32_e32 v132, v119, v134
	s_waitcnt vmcnt(2) lgkmcnt(0)
	v_mul_f32_e32 v98, v124, v136
	v_mul_f32_e32 v134, v123, v136
	s_waitcnt vmcnt(0)
	v_mul_f32_e32 v142, v126, v140
	v_mul_f32_e32 v136, v125, v140
	;; [unrolled: 1-line block ×4, first 2 shown]
	v_fma_f32 v47, v54, v129, -v47
	v_fmac_f32_e32 v48, v55, v129
	v_fma_f32 v129, v56, v131, -v49
	v_fmac_f32_e32 v130, v57, v131
	;; [unrolled: 2-line block ×6, first 2 shown]
	v_fmac_f32_e32 v97, v144, v127
	ds_write2_b64 v46, v[47:48], v[129:130] offset0:72 offset1:248
	ds_write2_b64 v52, v[50:51], v[131:132] offset0:48 offset1:224
	;; [unrolled: 1-line block ×4, first 2 shown]
	ds_write_b64 v99, v[96:97] offset:13376
	s_and_saveexec_b32 s2, vcc_lo
	s_cbranch_execz .LBB0_17
; %bb.16:
	v_add_co_u32 v47, s1, 0x1800, v44
	v_add_co_ci_u32_e64 v48, s1, 0, v45, s1
	v_add_co_u32 v44, s1, 0x3800, v44
	v_add_co_ci_u32_e64 v45, s1, 0, v45, s1
	s_clause 0x1
	global_load_dwordx2 v[47:48], v[47:48], off offset:896
	global_load_dwordx2 v[44:45], v[44:45], off offset:448
	ds_read_b64 v[49:50], v99 offset:7040
	ds_read_b64 v[51:52], v99 offset:14784
	s_waitcnt vmcnt(1) lgkmcnt(1)
	v_mul_f32_e32 v54, v50, v48
	v_mul_f32_e32 v55, v49, v48
	s_waitcnt vmcnt(0) lgkmcnt(0)
	v_mul_f32_e32 v56, v52, v45
	v_mul_f32_e32 v48, v51, v45
	v_fma_f32 v54, v49, v47, -v54
	v_fmac_f32_e32 v55, v50, v47
	v_fma_f32 v47, v51, v44, -v56
	v_fmac_f32_e32 v48, v52, v44
	ds_write_b64 v99, v[54:55] offset:7040
	ds_write_b64 v99, v[47:48] offset:14784
.LBB0_17:
	s_or_b32 exec_lo, exec_lo, s2
	s_waitcnt lgkmcnt(0)
	s_barrier
	buffer_gl0_inv
	ds_read2_b64 v[49:52], v99 offset1:176
	ds_read2_b64 v[57:60], v46 offset0:72 offset1:248
	ds_read2_b64 v[45:48], v95 offset0:32 offset1:208
	;; [unrolled: 1-line block ×3, first 2 shown]
	ds_read_b64 v[95:96], v99 offset:5632
	ds_read_b64 v[97:98], v99 offset:13376
	v_lshlrev_b32_e32 v115, 3, v115
	v_lshlrev_b32_e32 v63, 3, v116
	s_and_saveexec_b32 s1, vcc_lo
	s_cbranch_execz .LBB0_19
; %bb.18:
	ds_read_b64 v[93:94], v99 offset:7040
	ds_read_b64 v[61:62], v99 offset:14784
.LBB0_19:
	s_or_b32 exec_lo, exec_lo, s1
	s_waitcnt lgkmcnt(4)
	v_sub_f32_e32 v60, v52, v60
	s_waitcnt lgkmcnt(2)
	v_sub_f32_e32 v54, v46, v54
	v_sub_f32_e32 v125, v47, v55
	;; [unrolled: 1-line block ×6, first 2 shown]
	v_fma_f32 v58, v52, 2.0, -v60
	v_fma_f32 v52, v46, 2.0, -v54
	;; [unrolled: 1-line block ×3, first 2 shown]
	s_waitcnt lgkmcnt(0)
	v_sub_f32_e32 v46, v93, v61
	v_sub_f32_e32 v47, v94, v62
	;; [unrolled: 1-line block ×5, first 2 shown]
	v_fma_f32 v119, v49, 2.0, -v121
	v_fma_f32 v120, v50, 2.0, -v122
	;; [unrolled: 1-line block ×9, first 2 shown]
	s_barrier
	buffer_gl0_inv
	ds_write_b128 v103, v[119:122]
	ds_write_b128 v104, v[57:60]
	;; [unrolled: 1-line block ×5, first 2 shown]
	s_and_saveexec_b32 s1, vcc_lo
	s_cbranch_execz .LBB0_21
; %bb.20:
	ds_write_b128 v105, v[44:47]
.LBB0_21:
	s_or_b32 exec_lo, exec_lo, s1
	v_add_nc_u32_e32 v48, 0x1c00, v99
	v_add_nc_u32_e32 v49, 0xa00, v99
	;; [unrolled: 1-line block ×3, first 2 shown]
	s_waitcnt lgkmcnt(0)
	s_barrier
	buffer_gl0_inv
	ds_read2_b64 v[52:55], v99 offset1:176
	ds_read2_b64 v[60:63], v48 offset0:72 offset1:248
	ds_read2_b64 v[48:51], v49 offset0:32 offset1:208
	;; [unrolled: 1-line block ×3, first 2 shown]
	ds_read_b64 v[93:94], v99 offset:5632
	ds_read_b64 v[95:96], v99 offset:13376
	s_and_saveexec_b32 s1, vcc_lo
	s_cbranch_execz .LBB0_23
; %bb.22:
	ds_read_b64 v[44:45], v99 offset:7040
	ds_read_b64 v[46:47], v99 offset:14784
.LBB0_23:
	s_or_b32 exec_lo, exec_lo, s1
	s_waitcnt lgkmcnt(4)
	v_mul_f32_e32 v97, v90, v61
	v_mul_f32_e32 v98, v90, v60
	;; [unrolled: 1-line block ×4, first 2 shown]
	s_waitcnt lgkmcnt(0)
	v_mul_f32_e32 v105, v90, v96
	v_fmac_f32_e32 v97, v89, v60
	v_fma_f32 v60, v89, v61, -v98
	v_fmac_f32_e32 v103, v89, v62
	v_fma_f32 v62, v89, v63, -v104
	v_mul_f32_e32 v63, v90, v56
	v_mul_f32_e32 v98, v90, v59
	;; [unrolled: 1-line block ×5, first 2 shown]
	v_fma_f32 v63, v89, v57, -v63
	v_fmac_f32_e32 v98, v89, v58
	v_mul_f32_e32 v57, v90, v95
	v_mul_f32_e32 v58, v90, v46
	v_fmac_f32_e32 v105, v89, v95
	v_fmac_f32_e32 v106, v89, v46
	;; [unrolled: 1-line block ×3, first 2 shown]
	v_fma_f32 v90, v89, v96, -v57
	v_sub_f32_e32 v57, v53, v60
	v_fma_f32 v60, v89, v47, -v58
	v_sub_f32_e32 v56, v52, v97
	v_fma_f32 v104, v89, v59, -v104
	v_sub_f32_e32 v59, v49, v63
	v_fma_f32 v47, v53, 2.0, -v57
	v_sub_f32_e32 v53, v55, v62
	v_sub_f32_e32 v62, v93, v105
	;; [unrolled: 1-line block ×5, first 2 shown]
	v_fma_f32 v46, v52, 2.0, -v56
	v_sub_f32_e32 v52, v54, v103
	v_sub_f32_e32 v58, v48, v61
	;; [unrolled: 1-line block ×4, first 2 shown]
	v_fma_f32 v60, v93, 2.0, -v62
	v_fma_f32 v61, v94, 2.0, -v63
	;; [unrolled: 1-line block ×10, first 2 shown]
	s_barrier
	buffer_gl0_inv
	ds_write2_b64 v113, v[46:47], v[56:57] offset1:2
	ds_write2_b64 v112, v[54:55], v[52:53] offset1:2
	;; [unrolled: 1-line block ×5, first 2 shown]
	s_and_saveexec_b32 s1, vcc_lo
	s_cbranch_execz .LBB0_25
; %bb.24:
	v_and_or_b32 v44, 0x7fc, v107, v101
	v_lshlrev_b32_e32 v44, 3, v44
	ds_write2_b64 v44, v[93:94], v[89:90] offset1:2
.LBB0_25:
	s_or_b32 exec_lo, exec_lo, s1
	v_add_nc_u32_e32 v48, 0xe00, v99
	v_add_nc_u32_e32 v49, 0x1c00, v99
	;; [unrolled: 1-line block ×3, first 2 shown]
	s_waitcnt lgkmcnt(0)
	s_barrier
	buffer_gl0_inv
	ds_read2_b64 v[44:47], v99 offset1:176
	ds_read2_b64 v[56:59], v48 offset0:36 offset1:212
	ds_read2_b64 v[52:55], v49 offset0:72 offset1:248
	;; [unrolled: 1-line block ×3, first 2 shown]
	s_and_saveexec_b32 s1, s0
	s_cbranch_execz .LBB0_27
; %bb.26:
	ds_read_b64 v[60:61], v99 offset:2816
	ds_read_b64 v[62:63], v99 offset:6688
	;; [unrolled: 1-line block ×4, first 2 shown]
.LBB0_27:
	s_or_b32 exec_lo, exec_lo, s1
	s_waitcnt lgkmcnt(1)
	v_mul_f32_e32 v97, v3, v53
	v_mul_f32_e32 v95, v1, v57
	;; [unrolled: 1-line block ×5, first 2 shown]
	v_fmac_f32_e32 v97, v2, v52
	s_waitcnt lgkmcnt(0)
	v_mul_f32_e32 v52, v88, v49
	v_fmac_f32_e32 v95, v0, v56
	v_fma_f32 v56, v0, v57, -v96
	v_mul_f32_e32 v57, v88, v48
	v_fma_f32 v53, v2, v53, -v98
	v_fmac_f32_e32 v52, v87, v48
	v_mul_f32_e32 v96, v1, v59
	v_mul_f32_e32 v98, v1, v58
	v_fma_f32 v48, v87, v49, -v57
	v_sub_f32_e32 v57, v44, v97
	v_sub_f32_e32 v52, v95, v52
	v_fmac_f32_e32 v96, v0, v58
	v_fma_f32 v49, v0, v59, -v98
	v_fmac_f32_e32 v101, v2, v54
	v_mul_f32_e32 v54, v3, v54
	v_sub_f32_e32 v58, v45, v53
	v_fma_f32 v53, v44, 2.0, -v57
	v_sub_f32_e32 v59, v56, v48
	v_fma_f32 v44, v95, 2.0, -v52
	v_mul_f32_e32 v95, v88, v51
	v_mul_f32_e32 v48, v88, v50
	v_fma_f32 v54, v2, v55, -v54
	v_sub_f32_e32 v98, v46, v101
	v_sub_f32_e32 v44, v53, v44
	v_fmac_f32_e32 v95, v87, v50
	v_fma_f32 v50, v87, v51, -v48
	v_sub_f32_e32 v101, v47, v54
	v_fma_f32 v97, v45, 2.0, -v58
	v_fma_f32 v45, v56, 2.0, -v59
	v_sub_f32_e32 v55, v96, v95
	v_sub_f32_e32 v54, v49, v50
	v_fma_f32 v48, v53, 2.0, -v44
	v_add_f32_e32 v50, v57, v59
	v_fma_f32 v56, v46, 2.0, -v98
	v_fma_f32 v59, v47, 2.0, -v101
	v_fma_f32 v47, v96, 2.0, -v55
	v_fma_f32 v53, v49, 2.0, -v54
	v_sub_f32_e32 v45, v97, v45
	v_sub_f32_e32 v51, v58, v52
	v_add_f32_e32 v54, v98, v54
	v_sub_f32_e32 v52, v56, v47
	v_sub_f32_e32 v53, v59, v53
	;; [unrolled: 1-line block ×3, first 2 shown]
	v_fma_f32 v49, v97, 2.0, -v45
	v_fma_f32 v46, v57, 2.0, -v50
	v_fma_f32 v47, v58, 2.0, -v51
	v_fma_f32 v56, v56, 2.0, -v52
	v_fma_f32 v57, v59, 2.0, -v53
	v_fma_f32 v58, v98, 2.0, -v54
	v_fma_f32 v59, v101, 2.0, -v55
	s_barrier
	buffer_gl0_inv
	ds_write2_b64 v117, v[48:49], v[46:47] offset1:4
	ds_write2_b64 v117, v[44:45], v[50:51] offset0:8 offset1:12
	ds_write2_b64 v114, v[56:57], v[58:59] offset1:4
	ds_write2_b64 v114, v[52:53], v[54:55] offset0:8 offset1:12
	s_and_saveexec_b32 s1, s0
	s_cbranch_execz .LBB0_29
; %bb.28:
	v_mul_f32_e32 v44, v3, v93
	v_mul_f32_e32 v45, v1, v63
	;; [unrolled: 1-line block ×6, first 2 shown]
	v_fma_f32 v44, v2, v94, -v44
	v_fmac_f32_e32 v45, v0, v62
	v_fma_f32 v0, v0, v63, -v1
	v_fma_f32 v1, v87, v90, -v46
	v_fmac_f32_e32 v3, v2, v93
	v_fmac_f32_e32 v47, v87, v89
	v_sub_f32_e32 v44, v61, v44
	v_and_or_b32 v49, 0xff0, v111, v102
	v_sub_f32_e32 v2, v0, v1
	v_sub_f32_e32 v46, v60, v3
	;; [unrolled: 1-line block ×3, first 2 shown]
	v_fma_f32 v47, v61, 2.0, -v44
	v_lshlrev_b32_e32 v49, 3, v49
	v_fma_f32 v3, v0, 2.0, -v2
	v_fma_f32 v48, v60, 2.0, -v46
	;; [unrolled: 1-line block ×3, first 2 shown]
	v_sub_f32_e32 v1, v44, v1
	v_add_f32_e32 v0, v46, v2
	v_sub_f32_e32 v3, v47, v3
	v_sub_f32_e32 v2, v48, v45
	v_fma_f32 v45, v44, 2.0, -v1
	v_fma_f32 v44, v46, 2.0, -v0
	;; [unrolled: 1-line block ×4, first 2 shown]
	ds_write2_b64 v49, v[46:47], v[44:45] offset1:4
	ds_write2_b64 v49, v[2:3], v[0:1] offset0:8 offset1:12
.LBB0_29:
	s_or_b32 exec_lo, exec_lo, s1
	s_waitcnt lgkmcnt(0)
	s_barrier
	buffer_gl0_inv
	ds_read2_b64 v[44:47], v99 offset1:176
	v_add_nc_u32_e32 v0, 0xa00, v99
	v_add_nc_u32_e32 v2, 0x1400, v99
	ds_read2_b64 v[48:51], v0 offset0:32 offset1:208
	ds_read2_b64 v[52:55], v2 offset0:64 offset1:240
	v_add_nc_u32_e32 v3, 0x2000, v99
	v_add_nc_u32_e32 v1, 0x2c00, v99
	s_mov_b32 s2, 0x6be69c90
	s_mov_b32 s3, 0x3f40ecf5
	s_mul_i32 s1, s9, 0x3c8
	ds_read2_b64 v[56:59], v3 offset0:32 offset1:208
	ds_read_b64 v[87:88], v99 offset:14080
	ds_read2_b64 v[60:63], v1 offset1:176
	s_waitcnt lgkmcnt(0)
	s_barrier
	buffer_gl0_inv
	s_mul_hi_u32 s4, s8, 0x3c8
	s_add_i32 s1, s4, s1
	v_mul_f32_e32 v89, v21, v47
	v_mul_f32_e32 v21, v21, v46
	v_fmac_f32_e32 v89, v20, v46
	v_fma_f32 v20, v20, v47, -v21
	v_mul_f32_e32 v21, v23, v49
	v_mul_f32_e32 v23, v23, v48
	;; [unrolled: 1-line block ×8, first 2 shown]
	v_fmac_f32_e32 v21, v22, v48
	v_fma_f32 v22, v22, v49, -v23
	v_fmac_f32_e32 v46, v16, v50
	v_fma_f32 v16, v16, v51, -v17
	v_fma_f32 v17, v18, v53, -v19
	v_add_f32_e32 v19, v44, v89
	v_add_f32_e32 v23, v45, v20
	v_fmac_f32_e32 v47, v18, v52
	v_mul_f32_e32 v18, v11, v57
	v_fmac_f32_e32 v90, v8, v54
	v_fma_f32 v8, v8, v55, -v9
	v_mul_f32_e32 v9, v11, v56
	v_add_f32_e32 v11, v19, v21
	v_add_f32_e32 v19, v23, v22
	v_fmac_f32_e32 v18, v10, v56
	v_mul_f32_e32 v23, v5, v59
	v_mul_f32_e32 v5, v5, v58
	v_fma_f32 v9, v10, v57, -v9
	v_add_f32_e32 v10, v11, v46
	v_add_f32_e32 v11, v19, v16
	v_fmac_f32_e32 v23, v4, v58
	v_fma_f32 v19, v4, v59, -v5
	v_mul_f32_e32 v48, v7, v61
	v_add_f32_e32 v4, v10, v47
	v_add_f32_e32 v5, v11, v17
	v_mul_f32_e32 v7, v7, v60
	v_mul_f32_e32 v10, v13, v63
	v_fmac_f32_e32 v48, v6, v60
	v_add_f32_e32 v4, v4, v90
	v_add_f32_e32 v5, v5, v8
	v_fma_f32 v6, v6, v61, -v7
	v_mul_f32_e32 v7, v15, v87
	v_mul_f32_e32 v13, v13, v62
	v_fmac_f32_e32 v10, v12, v62
	v_add_f32_e32 v5, v5, v9
	v_add_f32_e32 v4, v4, v18
	v_mul_f32_e32 v11, v15, v88
	v_fma_f32 v7, v14, v88, -v7
	v_fma_f32 v12, v12, v63, -v13
	v_add_f32_e32 v5, v5, v19
	v_add_f32_e32 v4, v4, v23
	v_fmac_f32_e32 v11, v14, v87
	v_sub_f32_e32 v13, v20, v7
	v_add_f32_e32 v15, v20, v7
	v_add_f32_e32 v5, v5, v6
	;; [unrolled: 1-line block ×4, first 2 shown]
	v_mul_f32_e32 v20, 0xbf0a6770, v13
	v_sub_f32_e32 v49, v89, v11
	v_add_f32_e32 v5, v5, v12
	v_mul_f32_e32 v50, 0x3f575c64, v15
	v_mul_f32_e32 v53, 0x3ed4b147, v15
	;; [unrolled: 1-line block ×4, first 2 shown]
	v_add_f32_e32 v5, v5, v7
	v_mul_f32_e32 v7, 0xbf68dda4, v13
	v_mul_f32_e32 v59, 0xbf4178ce, v13
	;; [unrolled: 1-line block ×5, first 2 shown]
	v_sub_f32_e32 v87, v22, v12
	v_add_f32_e32 v4, v4, v10
	v_fmamk_f32 v51, v14, 0x3f575c64, v20
	v_fma_f32 v20, 0x3f575c64, v14, -v20
	v_fmamk_f32 v52, v14, 0x3ed4b147, v7
	v_fma_f32 v7, 0x3ed4b147, v14, -v7
	;; [unrolled: 2-line block ×4, first 2 shown]
	v_fmamk_f32 v63, v14, 0xbf75a155, v13
	v_fmamk_f32 v88, v49, 0x3e903f40, v15
	v_fma_f32 v13, 0xbf75a155, v14, -v13
	v_add_f32_e32 v12, v22, v12
	v_add_f32_e32 v14, v21, v10
	v_mul_f32_e32 v22, 0xbf68dda4, v87
	v_add_f32_e32 v4, v4, v11
	v_fmamk_f32 v11, v49, 0x3f0a6770, v50
	v_add_f32_e32 v51, v44, v51
	v_fmac_f32_e32 v50, 0xbf0a6770, v49
	v_fmamk_f32 v55, v49, 0x3f68dda4, v53
	v_fmac_f32_e32 v53, 0xbf68dda4, v49
	v_fmamk_f32 v58, v49, 0x3f7d64f0, v56
	;; [unrolled: 2-line block ×3, first 2 shown]
	v_fmac_f32_e32 v60, 0xbf4178ce, v49
	v_fmac_f32_e32 v15, 0xbe903f40, v49
	v_sub_f32_e32 v10, v21, v10
	v_mul_f32_e32 v21, 0x3ed4b147, v12
	v_add_f32_e32 v49, v45, v88
	v_fmamk_f32 v88, v14, 0x3ed4b147, v22
	v_add_f32_e32 v11, v45, v11
	v_add_f32_e32 v20, v44, v20
	;; [unrolled: 1-line block ×18, first 2 shown]
	v_fmamk_f32 v44, v10, 0x3f68dda4, v21
	v_mul_f32_e32 v45, 0xbf4178ce, v87
	v_add_f32_e32 v51, v88, v51
	v_fma_f32 v22, 0x3ed4b147, v14, -v22
	v_fmac_f32_e32 v21, 0xbf68dda4, v10
	v_mul_f32_e32 v88, 0xbf27a4f4, v12
	v_add_f32_e32 v11, v44, v11
	v_fmamk_f32 v44, v14, 0xbf27a4f4, v45
	v_add_f32_e32 v20, v22, v20
	v_add_f32_e32 v21, v21, v50
	v_mul_f32_e32 v22, 0x3e903f40, v87
	v_fmamk_f32 v50, v10, 0x3f4178ce, v88
	v_fma_f32 v45, 0xbf27a4f4, v14, -v45
	v_fmac_f32_e32 v88, 0xbf4178ce, v10
	v_mul_f32_e32 v89, 0xbf75a155, v12
	v_add_f32_e32 v44, v44, v52
	v_fmamk_f32 v52, v14, 0xbf75a155, v22
	v_add_f32_e32 v50, v50, v55
	v_add_f32_e32 v7, v45, v7
	;; [unrolled: 1-line block ×3, first 2 shown]
	v_fmamk_f32 v53, v10, 0xbe903f40, v89
	v_mul_f32_e32 v55, 0x3f7d64f0, v87
	v_add_f32_e32 v52, v52, v57
	v_fma_f32 v22, 0xbf75a155, v14, -v22
	v_mul_f32_e32 v57, 0xbe11bafb, v12
	v_add_f32_e32 v53, v53, v58
	v_fmamk_f32 v58, v14, 0xbe11bafb, v55
	v_mul_f32_e32 v87, 0x3f0a6770, v87
	v_fma_f32 v55, 0xbe11bafb, v14, -v55
	v_add_f32_e32 v22, v22, v54
	v_fmamk_f32 v54, v10, 0xbf7d64f0, v57
	v_add_f32_e32 v58, v58, v61
	v_fmac_f32_e32 v57, 0x3f7d64f0, v10
	v_fmamk_f32 v61, v14, 0x3f575c64, v87
	v_add_f32_e32 v55, v55, v59
	v_sub_f32_e32 v59, v16, v6
	v_add_f32_e32 v54, v54, v62
	v_mul_f32_e32 v12, 0x3f575c64, v12
	v_add_f32_e32 v57, v57, v60
	v_add_f32_e32 v60, v61, v63
	;; [unrolled: 1-line block ×3, first 2 shown]
	v_mul_f32_e32 v63, 0xbf7d64f0, v59
	v_add_f32_e32 v6, v16, v6
	v_fmac_f32_e32 v89, 0x3e903f40, v10
	v_fmamk_f32 v61, v10, 0xbf0a6770, v12
	v_fma_f32 v14, 0x3f575c64, v14, -v87
	v_fmac_f32_e32 v12, 0x3f0a6770, v10
	v_sub_f32_e32 v10, v46, v48
	v_fmamk_f32 v16, v62, 0xbe11bafb, v63
	v_mul_f32_e32 v46, 0xbe11bafb, v6
	v_add_f32_e32 v48, v61, v49
	v_add_f32_e32 v13, v14, v13
	v_add_f32_e32 v12, v12, v15
	v_add_f32_e32 v14, v16, v51
	v_fmamk_f32 v15, v10, 0x3f7d64f0, v46
	v_mul_f32_e32 v16, 0x3e903f40, v59
	v_fma_f32 v49, 0xbe11bafb, v62, -v63
	v_fmac_f32_e32 v46, 0xbf7d64f0, v10
	v_mul_f32_e32 v51, 0xbf75a155, v6
	v_add_f32_e32 v11, v15, v11
	v_fmamk_f32 v15, v62, 0xbf75a155, v16
	v_add_f32_e32 v20, v49, v20
	v_add_f32_e32 v21, v46, v21
	v_fmamk_f32 v46, v10, 0xbe903f40, v51
	v_mul_f32_e32 v49, 0x3f68dda4, v59
	v_fma_f32 v16, 0xbf75a155, v62, -v16
	v_fmac_f32_e32 v51, 0x3e903f40, v10
	v_add_f32_e32 v15, v15, v44
	v_add_f32_e32 v44, v46, v50
	v_fmamk_f32 v46, v62, 0x3ed4b147, v49
	v_mul_f32_e32 v50, 0x3ed4b147, v6
	v_add_f32_e32 v7, v16, v7
	v_add_f32_e32 v16, v51, v45
	v_mul_f32_e32 v45, 0xbf0a6770, v59
	v_add_f32_e32 v56, v89, v56
	v_add_f32_e32 v46, v46, v52
	v_fmamk_f32 v51, v10, 0xbf68dda4, v50
	v_fma_f32 v49, 0x3ed4b147, v62, -v49
	v_fmac_f32_e32 v50, 0x3f68dda4, v10
	v_fmamk_f32 v52, v62, 0x3f575c64, v45
	v_mul_f32_e32 v61, 0x3f575c64, v6
	v_mul_f32_e32 v6, 0xbf27a4f4, v6
	v_add_f32_e32 v22, v49, v22
	v_add_f32_e32 v49, v50, v56
	;; [unrolled: 1-line block ×3, first 2 shown]
	v_fmamk_f32 v52, v10, 0x3f0a6770, v61
	v_fma_f32 v45, 0x3f575c64, v62, -v45
	v_fmac_f32_e32 v61, 0xbf0a6770, v10
	v_add_f32_e32 v51, v51, v53
	v_mul_f32_e32 v53, 0xbf4178ce, v59
	v_fmamk_f32 v56, v10, 0x3f4178ce, v6
	v_add_f32_e32 v45, v45, v55
	v_add_f32_e32 v55, v61, v57
	v_sub_f32_e32 v57, v17, v19
	v_add_f32_e32 v17, v17, v19
	v_add_f32_e32 v52, v52, v54
	v_fmamk_f32 v54, v62, 0xbf27a4f4, v53
	v_add_f32_e32 v48, v56, v48
	v_add_f32_e32 v56, v47, v23
	v_mul_f32_e32 v19, 0xbf4178ce, v57
	v_fma_f32 v53, 0xbf27a4f4, v62, -v53
	v_fmac_f32_e32 v6, 0xbf4178ce, v10
	v_sub_f32_e32 v10, v47, v23
	v_mul_f32_e32 v23, 0xbf27a4f4, v17
	v_fmamk_f32 v47, v56, 0xbf27a4f4, v19
	v_add_f32_e32 v13, v53, v13
	v_add_f32_e32 v6, v6, v12
	v_mul_f32_e32 v12, 0x3f7d64f0, v57
	v_fmamk_f32 v53, v10, 0x3f4178ce, v23
	v_fma_f32 v19, 0xbf27a4f4, v56, -v19
	v_fmac_f32_e32 v23, 0xbf4178ce, v10
	v_add_f32_e32 v14, v47, v14
	v_fmamk_f32 v47, v56, 0xbe11bafb, v12
	v_add_f32_e32 v11, v53, v11
	v_mul_f32_e32 v53, 0xbe11bafb, v17
	v_add_f32_e32 v19, v19, v20
	v_add_f32_e32 v20, v23, v21
	v_mul_f32_e32 v21, 0xbf0a6770, v57
	v_add_f32_e32 v15, v47, v15
	v_fmamk_f32 v23, v10, 0xbf7d64f0, v53
	v_fma_f32 v12, 0xbe11bafb, v56, -v12
	v_mul_f32_e32 v47, 0x3f575c64, v17
	v_fmamk_f32 v58, v56, 0x3f575c64, v21
	v_fmac_f32_e32 v53, 0x3f7d64f0, v10
	v_add_f32_e32 v23, v23, v44
	v_add_f32_e32 v12, v12, v7
	v_fmamk_f32 v7, v10, 0x3f0a6770, v47
	v_add_f32_e32 v44, v58, v46
	v_mul_f32_e32 v46, 0xbe903f40, v57
	v_fma_f32 v21, 0x3f575c64, v56, -v21
	v_fmac_f32_e32 v47, 0xbf0a6770, v10
	v_add_f32_e32 v16, v53, v16
	v_add_f32_e32 v51, v7, v51
	v_mul_f32_e32 v7, 0xbf75a155, v17
	v_fmamk_f32 v53, v56, 0xbf75a155, v46
	v_add_f32_e32 v21, v21, v22
	v_add_f32_e32 v22, v47, v49
	v_mul_f32_e32 v47, 0x3f68dda4, v57
	v_add_f32_e32 v54, v54, v60
	v_fmamk_f32 v49, v10, 0x3e903f40, v7
	v_add_f32_e32 v50, v53, v50
	v_fma_f32 v46, 0xbf75a155, v56, -v46
	v_fmamk_f32 v53, v56, 0x3ed4b147, v47
	v_fmac_f32_e32 v7, 0xbe903f40, v10
	v_add_f32_e32 v49, v49, v52
	v_mul_f32_e32 v17, 0x3ed4b147, v17
	v_add_f32_e32 v45, v46, v45
	v_add_f32_e32 v52, v53, v54
	v_sub_f32_e32 v53, v8, v9
	v_add_f32_e32 v54, v8, v9
	v_add_f32_e32 v46, v7, v55
	v_fmamk_f32 v7, v10, 0xbf68dda4, v17
	v_fma_f32 v47, 0x3ed4b147, v56, -v47
	v_add_f32_e32 v55, v90, v18
	v_mul_f32_e32 v8, 0xbe903f40, v53
	v_sub_f32_e32 v56, v90, v18
	v_mul_f32_e32 v9, 0xbf75a155, v54
	v_fmac_f32_e32 v17, 0x3f68dda4, v10
	v_add_f32_e32 v48, v7, v48
	v_fmamk_f32 v7, v55, 0xbf75a155, v8
	v_add_f32_e32 v47, v47, v13
	v_fmamk_f32 v10, v56, 0x3e903f40, v9
	v_mul_f32_e32 v13, 0x3f0a6770, v53
	v_add_f32_e32 v57, v17, v6
	v_add_f32_e32 v6, v7, v14
	v_fma_f32 v8, 0xbf75a155, v55, -v8
	v_add_f32_e32 v7, v10, v11
	v_fmamk_f32 v10, v55, 0x3f575c64, v13
	v_mul_f32_e32 v14, 0x3f575c64, v54
	v_mul_f32_e32 v17, 0xbf4178ce, v53
	v_fmac_f32_e32 v9, 0xbe903f40, v56
	v_add_f32_e32 v8, v8, v19
	v_add_f32_e32 v10, v10, v15
	v_fmamk_f32 v11, v56, 0xbf0a6770, v14
	v_fma_f32 v13, 0x3f575c64, v55, -v13
	v_fmac_f32_e32 v14, 0x3f0a6770, v56
	v_fmamk_f32 v15, v55, 0xbf27a4f4, v17
	v_mul_f32_e32 v18, 0xbf27a4f4, v54
	v_mul_f32_e32 v19, 0x3f68dda4, v53
	v_add_f32_e32 v9, v9, v20
	v_add_f32_e32 v12, v13, v12
	;; [unrolled: 1-line block ×4, first 2 shown]
	v_fmamk_f32 v15, v56, 0x3f4178ce, v18
	v_fmac_f32_e32 v18, 0xbf4178ce, v56
	v_fmamk_f32 v20, v55, 0x3ed4b147, v19
	v_add_f32_e32 v11, v11, v23
	v_fma_f32 v16, 0xbf27a4f4, v55, -v17
	v_mul_f32_e32 v23, 0x3ed4b147, v54
	v_add_f32_e32 v17, v18, v22
	v_fma_f32 v22, 0x3ed4b147, v55, -v19
	v_add_f32_e32 v18, v20, v50
	v_mul_f32_e32 v44, 0xbf7d64f0, v53
	v_mul_f32_e32 v50, 0xbe11bafb, v54
	v_add_f32_e32 v16, v16, v21
	v_fmamk_f32 v21, v56, 0xbf68dda4, v23
	v_add_f32_e32 v20, v22, v45
	v_fmac_f32_e32 v23, 0x3f68dda4, v56
	v_fmamk_f32 v22, v55, 0xbe11bafb, v44
	v_fmamk_f32 v45, v56, 0x3f7d64f0, v50
	v_fma_f32 v44, 0xbe11bafb, v55, -v44
	v_fmac_f32_e32 v50, 0xbf7d64f0, v56
	v_add_f32_e32 v15, v15, v51
	v_add_f32_e32 v19, v21, v49
	;; [unrolled: 1-line block ×7, first 2 shown]
	ds_write2_b64 v118, v[4:5], v[6:7] offset1:16
	ds_write2_b64 v118, v[10:11], v[14:15] offset0:32 offset1:48
	ds_write2_b64 v118, v[18:19], v[22:23] offset0:64 offset1:80
	;; [unrolled: 1-line block ×4, first 2 shown]
	ds_write_b64 v118, v[8:9] offset:1280
	s_waitcnt lgkmcnt(0)
	s_barrier
	buffer_gl0_inv
	ds_read2_b64 v[4:7], v99 offset1:176
	ds_read2_b64 v[8:11], v0 offset0:32 offset1:208
	ds_read2_b64 v[12:15], v2 offset0:64 offset1:240
	;; [unrolled: 1-line block ×3, first 2 shown]
	ds_read2_b64 v[20:23], v1 offset1:176
	ds_read_b64 v[44:45], v99 offset:14080
	s_waitcnt lgkmcnt(5)
	v_mul_f32_e32 v46, v41, v7
	s_waitcnt lgkmcnt(4)
	v_mul_f32_e32 v47, v43, v9
	v_mul_f32_e32 v41, v41, v6
	;; [unrolled: 1-line block ×3, first 2 shown]
	v_fmac_f32_e32 v46, v40, v6
	v_fmac_f32_e32 v47, v42, v8
	v_mul_f32_e32 v8, v37, v11
	v_fma_f32 v6, v40, v7, -v41
	v_mul_f32_e32 v7, v37, v10
	s_waitcnt lgkmcnt(3)
	v_mul_f32_e32 v37, v39, v13
	v_mul_f32_e32 v39, v39, v12
	v_fmac_f32_e32 v8, v36, v10
	v_mul_f32_e32 v10, v29, v15
	v_fma_f32 v9, v42, v9, -v43
	v_fma_f32 v11, v36, v11, -v7
	v_fmac_f32_e32 v37, v38, v12
	v_fma_f32 v12, v38, v13, -v39
	v_mul_f32_e32 v7, v29, v14
	v_fmac_f32_e32 v10, v28, v14
	s_waitcnt lgkmcnt(2)
	v_mul_f32_e32 v13, v31, v17
	v_add_f32_e32 v14, v4, v46
	v_add_f32_e32 v29, v5, v6
	v_fma_f32 v15, v28, v15, -v7
	v_mul_f32_e32 v7, v31, v16
	v_fmac_f32_e32 v13, v30, v16
	v_add_f32_e32 v14, v14, v47
	v_add_f32_e32 v16, v29, v9
	v_mul_f32_e32 v28, v25, v19
	v_fma_f32 v17, v30, v17, -v7
	v_mul_f32_e32 v7, v25, v18
	v_add_f32_e32 v14, v14, v8
	v_add_f32_e32 v16, v16, v11
	v_fmac_f32_e32 v28, v24, v18
	s_waitcnt lgkmcnt(1)
	v_mul_f32_e32 v18, v27, v21
	v_fma_f32 v19, v24, v19, -v7
	v_add_f32_e32 v7, v14, v37
	v_add_f32_e32 v14, v16, v12
	v_mul_f32_e32 v16, v27, v20
	v_fmac_f32_e32 v18, v26, v20
	v_mul_f32_e32 v20, v33, v23
	v_add_f32_e32 v7, v7, v10
	v_add_f32_e32 v14, v14, v15
	v_fma_f32 v16, v26, v21, -v16
	s_waitcnt lgkmcnt(0)
	v_mul_f32_e32 v21, v35, v44
	v_mul_f32_e32 v24, v35, v45
	v_add_f32_e32 v7, v7, v13
	v_add_f32_e32 v14, v14, v17
	v_fmac_f32_e32 v20, v32, v22
	v_fma_f32 v21, v34, v45, -v21
	v_mul_f32_e32 v22, v33, v22
	v_add_f32_e32 v7, v7, v28
	v_add_f32_e32 v14, v14, v19
	v_fmac_f32_e32 v24, v34, v44
	v_sub_f32_e32 v25, v6, v21
	v_fma_f32 v22, v32, v23, -v22
	v_add_f32_e32 v7, v7, v18
	v_add_f32_e32 v14, v14, v16
	;; [unrolled: 1-line block ×3, first 2 shown]
	v_mul_f32_e32 v26, 0xbf0a6770, v25
	v_add_f32_e32 v27, v6, v21
	v_add_f32_e32 v6, v7, v20
	v_add_f32_e32 v7, v14, v22
	v_sub_f32_e32 v14, v46, v24
	v_fmamk_f32 v29, v23, 0x3f575c64, v26
	v_mul_f32_e32 v30, 0x3f575c64, v27
	v_mul_f32_e32 v31, 0x3ed4b147, v27
	v_add_f32_e32 v7, v7, v21
	v_mul_f32_e32 v34, 0xbf7d64f0, v25
	v_add_f32_e32 v21, v4, v29
	v_mul_f32_e32 v29, 0xbf68dda4, v25
	v_mul_f32_e32 v36, 0xbe11bafb, v27
	;; [unrolled: 1-line block ×6, first 2 shown]
	v_sub_f32_e32 v45, v9, v22
	v_add_f32_e32 v9, v9, v22
	v_add_f32_e32 v6, v6, v24
	v_fmamk_f32 v24, v14, 0x3f0a6770, v30
	v_fma_f32 v26, 0x3f575c64, v23, -v26
	v_fmac_f32_e32 v30, 0xbf0a6770, v14
	v_fmamk_f32 v32, v23, 0x3ed4b147, v29
	v_fmamk_f32 v33, v14, 0x3f68dda4, v31
	v_fma_f32 v29, 0x3ed4b147, v23, -v29
	v_fmac_f32_e32 v31, 0xbf68dda4, v14
	v_fmamk_f32 v35, v23, 0xbe11bafb, v34
	v_fmamk_f32 v39, v14, 0x3f7d64f0, v36
	v_fma_f32 v34, 0xbe11bafb, v23, -v34
	v_fmac_f32_e32 v36, 0xbf7d64f0, v14
	v_fmamk_f32 v40, v23, 0xbf27a4f4, v38
	v_fmamk_f32 v42, v14, 0x3f4178ce, v41
	v_fma_f32 v38, 0xbf27a4f4, v23, -v38
	v_fmac_f32_e32 v41, 0xbf4178ce, v14
	v_fmamk_f32 v43, v23, 0xbf75a155, v25
	v_fmamk_f32 v44, v14, 0x3e903f40, v27
	v_add_f32_e32 v46, v47, v20
	v_mul_f32_e32 v22, 0xbf68dda4, v45
	v_fma_f32 v23, 0xbf75a155, v23, -v25
	v_fmac_f32_e32 v27, 0xbe903f40, v14
	v_sub_f32_e32 v14, v47, v20
	v_mul_f32_e32 v20, 0x3ed4b147, v9
	v_add_f32_e32 v24, v5, v24
	v_add_f32_e32 v26, v4, v26
	;; [unrolled: 1-line block ×17, first 2 shown]
	v_fmamk_f32 v25, v46, 0x3ed4b147, v22
	v_add_f32_e32 v4, v4, v23
	v_add_f32_e32 v5, v5, v27
	v_mul_f32_e32 v23, 0xbf4178ce, v45
	v_fmamk_f32 v27, v14, 0x3f68dda4, v20
	v_add_f32_e32 v21, v25, v21
	v_fma_f32 v22, 0x3ed4b147, v46, -v22
	v_fmac_f32_e32 v20, 0xbf68dda4, v14
	v_fmamk_f32 v25, v46, 0xbf27a4f4, v23
	v_add_f32_e32 v24, v27, v24
	v_mul_f32_e32 v27, 0xbf27a4f4, v9
	v_add_f32_e32 v22, v22, v26
	v_add_f32_e32 v20, v20, v30
	;; [unrolled: 1-line block ×3, first 2 shown]
	v_mul_f32_e32 v26, 0x3e903f40, v45
	v_fmamk_f32 v30, v14, 0x3f4178ce, v27
	v_fma_f32 v23, 0xbf27a4f4, v46, -v23
	v_mul_f32_e32 v32, 0xbf75a155, v9
	v_fmac_f32_e32 v27, 0xbf4178ce, v14
	v_fmamk_f32 v47, v46, 0xbf75a155, v26
	v_add_f32_e32 v30, v30, v33
	v_add_f32_e32 v23, v23, v29
	v_fmamk_f32 v29, v14, 0xbe903f40, v32
	v_mul_f32_e32 v33, 0x3f7d64f0, v45
	v_fma_f32 v26, 0xbf75a155, v46, -v26
	v_add_f32_e32 v27, v27, v31
	v_add_f32_e32 v31, v47, v35
	;; [unrolled: 1-line block ×3, first 2 shown]
	v_fmamk_f32 v39, v46, 0xbe11bafb, v33
	v_add_f32_e32 v26, v26, v34
	v_mul_f32_e32 v34, 0x3f0a6770, v45
	v_fmac_f32_e32 v32, 0x3e903f40, v14
	v_mul_f32_e32 v35, 0xbe11bafb, v9
	v_add_f32_e32 v39, v39, v40
	v_fma_f32 v33, 0xbe11bafb, v46, -v33
	v_fmamk_f32 v40, v46, 0x3f575c64, v34
	v_add_f32_e32 v32, v32, v36
	v_fmamk_f32 v36, v14, 0xbf7d64f0, v35
	v_fmac_f32_e32 v35, 0x3f7d64f0, v14
	v_mul_f32_e32 v9, 0x3f575c64, v9
	v_add_f32_e32 v33, v33, v38
	v_add_f32_e32 v38, v40, v43
	v_sub_f32_e32 v40, v11, v16
	v_add_f32_e32 v11, v11, v16
	v_add_f32_e32 v36, v36, v42
	;; [unrolled: 1-line block ×3, first 2 shown]
	v_fmamk_f32 v41, v14, 0xbf0a6770, v9
	v_fma_f32 v34, 0x3f575c64, v46, -v34
	v_add_f32_e32 v16, v8, v18
	v_mul_f32_e32 v42, 0xbf7d64f0, v40
	v_fmac_f32_e32 v9, 0x3f0a6770, v14
	v_sub_f32_e32 v8, v8, v18
	v_mul_f32_e32 v14, 0xbe11bafb, v11
	v_add_f32_e32 v18, v41, v44
	v_fmamk_f32 v41, v16, 0xbe11bafb, v42
	v_add_f32_e32 v4, v34, v4
	v_add_f32_e32 v5, v9, v5
	v_fmamk_f32 v9, v8, 0x3f7d64f0, v14
	v_mul_f32_e32 v34, 0x3e903f40, v40
	v_fmac_f32_e32 v14, 0xbf7d64f0, v8
	v_add_f32_e32 v21, v41, v21
	v_fma_f32 v41, 0xbe11bafb, v16, -v42
	v_add_f32_e32 v9, v9, v24
	v_fmamk_f32 v24, v16, 0xbf75a155, v34
	v_mul_f32_e32 v42, 0xbf75a155, v11
	v_add_f32_e32 v14, v14, v20
	v_mul_f32_e32 v20, 0x3f68dda4, v40
	v_add_f32_e32 v22, v41, v22
	v_add_f32_e32 v24, v24, v25
	v_fmamk_f32 v25, v8, 0xbe903f40, v42
	v_fma_f32 v34, 0xbf75a155, v16, -v34
	v_fmamk_f32 v41, v16, 0x3ed4b147, v20
	v_mul_f32_e32 v43, 0x3ed4b147, v11
	v_fma_f32 v20, 0x3ed4b147, v16, -v20
	v_add_f32_e32 v25, v25, v30
	v_add_f32_e32 v23, v34, v23
	;; [unrolled: 1-line block ×3, first 2 shown]
	v_fmamk_f32 v31, v8, 0xbf68dda4, v43
	v_mul_f32_e32 v34, 0xbf0a6770, v40
	v_fmac_f32_e32 v43, 0x3f68dda4, v8
	v_mul_f32_e32 v41, 0x3f575c64, v11
	v_add_f32_e32 v20, v20, v26
	v_add_f32_e32 v29, v31, v29
	v_fmamk_f32 v31, v16, 0x3f575c64, v34
	v_add_f32_e32 v26, v43, v32
	v_fmamk_f32 v32, v8, 0x3f0a6770, v41
	v_mul_f32_e32 v40, 0xbf4178ce, v40
	v_fma_f32 v34, 0x3f575c64, v16, -v34
	v_fmac_f32_e32 v41, 0xbf0a6770, v8
	v_mul_f32_e32 v11, 0xbf27a4f4, v11
	v_add_f32_e32 v32, v32, v36
	v_fmamk_f32 v36, v16, 0xbf27a4f4, v40
	v_add_f32_e32 v33, v34, v33
	v_add_f32_e32 v34, v41, v35
	v_sub_f32_e32 v35, v12, v19
	v_add_f32_e32 v12, v12, v19
	v_fmac_f32_e32 v42, 0x3e903f40, v8
	v_add_f32_e32 v31, v31, v39
	v_add_f32_e32 v36, v36, v38
	v_fmamk_f32 v38, v8, 0x3f4178ce, v11
	v_add_f32_e32 v39, v37, v28
	v_mul_f32_e32 v19, 0xbf4178ce, v35
	v_fmac_f32_e32 v11, 0xbf4178ce, v8
	v_sub_f32_e32 v8, v37, v28
	v_mul_f32_e32 v28, 0xbf27a4f4, v12
	v_fma_f32 v16, 0xbf27a4f4, v16, -v40
	v_fmamk_f32 v37, v39, 0xbf27a4f4, v19
	v_add_f32_e32 v5, v11, v5
	v_fma_f32 v19, 0xbf27a4f4, v39, -v19
	v_fmamk_f32 v11, v8, 0x3f4178ce, v28
	v_add_f32_e32 v4, v16, v4
	v_add_f32_e32 v16, v37, v21
	v_mul_f32_e32 v21, 0x3f7d64f0, v35
	v_fmac_f32_e32 v28, 0xbf4178ce, v8
	v_add_f32_e32 v9, v11, v9
	v_mul_f32_e32 v11, 0xbe11bafb, v12
	v_add_f32_e32 v19, v19, v22
	v_fmamk_f32 v37, v39, 0xbe11bafb, v21
	v_add_f32_e32 v14, v28, v14
	v_mul_f32_e32 v22, 0xbf0a6770, v35
	v_fmamk_f32 v28, v8, 0xbf7d64f0, v11
	v_add_f32_e32 v27, v42, v27
	v_add_f32_e32 v24, v37, v24
	v_fma_f32 v21, 0xbe11bafb, v39, -v21
	v_fmac_f32_e32 v11, 0x3f7d64f0, v8
	v_fmamk_f32 v37, v39, 0x3f575c64, v22
	v_add_f32_e32 v25, v28, v25
	v_mul_f32_e32 v28, 0x3f575c64, v12
	v_add_f32_e32 v21, v21, v23
	v_add_f32_e32 v23, v11, v27
	;; [unrolled: 1-line block ×3, first 2 shown]
	v_mul_f32_e32 v11, 0xbe903f40, v35
	v_fmamk_f32 v30, v8, 0x3f0a6770, v28
	v_add_f32_e32 v18, v38, v18
	v_fma_f32 v22, 0x3f575c64, v39, -v22
	v_fmac_f32_e32 v28, 0xbf0a6770, v8
	v_mul_f32_e32 v37, 0xbf75a155, v12
	v_fmamk_f32 v38, v39, 0xbf75a155, v11
	v_add_f32_e32 v29, v30, v29
	v_mul_f32_e32 v30, 0x3f68dda4, v35
	v_add_f32_e32 v20, v22, v20
	v_add_f32_e32 v26, v28, v26
	v_fmamk_f32 v22, v8, 0x3e903f40, v37
	v_add_f32_e32 v28, v38, v31
	v_mul_f32_e32 v12, 0x3ed4b147, v12
	v_fma_f32 v11, 0xbf75a155, v39, -v11
	v_fmamk_f32 v31, v39, 0x3ed4b147, v30
	v_sub_f32_e32 v35, v15, v17
	v_add_f32_e32 v22, v22, v32
	v_fmamk_f32 v32, v8, 0xbf68dda4, v12
	v_add_f32_e32 v33, v11, v33
	v_add_f32_e32 v31, v31, v36
	;; [unrolled: 1-line block ×3, first 2 shown]
	v_mul_f32_e32 v11, 0xbe903f40, v35
	v_add_f32_e32 v17, v15, v17
	v_fmac_f32_e32 v12, 0x3f68dda4, v8
	v_fmac_f32_e32 v37, 0xbe903f40, v8
	v_fma_f32 v15, 0x3ed4b147, v39, -v30
	v_sub_f32_e32 v30, v10, v13
	v_fmamk_f32 v8, v36, 0xbf75a155, v11
	v_mul_f32_e32 v10, 0xbf75a155, v17
	v_add_f32_e32 v38, v12, v5
	v_mul_f32_e32 v12, 0x3f0a6770, v35
	v_add_f32_e32 v34, v37, v34
	v_add_f32_e32 v37, v15, v4
	;; [unrolled: 1-line block ×3, first 2 shown]
	v_fmamk_f32 v5, v30, 0x3e903f40, v10
	v_fma_f32 v8, 0xbf75a155, v36, -v11
	v_fmac_f32_e32 v10, 0xbe903f40, v30
	v_fmamk_f32 v11, v36, 0x3f575c64, v12
	v_mul_f32_e32 v13, 0x3f575c64, v17
	v_add_f32_e32 v32, v32, v18
	v_add_f32_e32 v5, v5, v9
	;; [unrolled: 1-line block ×4, first 2 shown]
	v_fmamk_f32 v11, v30, 0xbf0a6770, v13
	v_fma_f32 v12, 0x3f575c64, v36, -v12
	v_mul_f32_e32 v14, 0xbf4178ce, v35
	v_fmac_f32_e32 v13, 0x3f0a6770, v30
	v_mul_f32_e32 v39, 0xbf27a4f4, v17
	v_mul_f32_e32 v18, 0x3f68dda4, v35
	v_add_f32_e32 v8, v8, v19
	v_add_f32_e32 v12, v12, v21
	v_fmamk_f32 v15, v36, 0xbf27a4f4, v14
	v_add_f32_e32 v13, v13, v23
	v_fmamk_f32 v16, v30, 0x3f4178ce, v39
	v_fma_f32 v19, 0xbf27a4f4, v36, -v14
	v_mul_f32_e32 v21, 0x3ed4b147, v17
	v_fmamk_f32 v23, v36, 0x3ed4b147, v18
	v_add_f32_e32 v14, v15, v27
	v_add_f32_e32 v15, v16, v29
	;; [unrolled: 1-line block ×3, first 2 shown]
	v_fmamk_f32 v19, v30, 0xbf68dda4, v21
	v_fma_f32 v20, 0x3ed4b147, v36, -v18
	v_add_f32_e32 v18, v23, v28
	v_mul_f32_e32 v23, 0xbf7d64f0, v35
	v_mul_f32_e32 v17, 0xbe11bafb, v17
	v_add_f32_e32 v19, v19, v22
	v_add_f32_e32 v11, v11, v25
	v_fmac_f32_e32 v21, 0x3f68dda4, v30
	v_fmamk_f32 v22, v36, 0xbe11bafb, v23
	v_fmamk_f32 v24, v30, 0x3f7d64f0, v17
	v_fma_f32 v25, 0xbe11bafb, v36, -v23
	v_fmac_f32_e32 v17, 0xbf7d64f0, v30
	v_fmac_f32_e32 v39, 0xbf4178ce, v30
	v_add_f32_e32 v22, v22, v31
	v_add_f32_e32 v23, v24, v32
	;; [unrolled: 1-line block ×7, first 2 shown]
	ds_write2_b64 v99, v[6:7], v[4:5] offset1:176
	ds_write2_b64 v0, v[10:11], v[14:15] offset0:32 offset1:208
	ds_write2_b64 v2, v[18:19], v[22:23] offset0:64 offset1:240
	;; [unrolled: 1-line block ×3, first 2 shown]
	ds_write2_b64 v1, v[16:17], v[12:13] offset1:176
	ds_write_b64 v99, v[8:9] offset:14080
	s_waitcnt lgkmcnt(0)
	s_barrier
	buffer_gl0_inv
	ds_read2_b64 v[1:4], v99 offset1:176
	v_add_nc_u32_e32 v5, 0x1c00, v99
	v_mad_u64_u32 v[13:14], null, s10, v66, 0
	v_mad_u64_u32 v[15:16], null, s8, v100, 0
	ds_read2_b64 v[5:8], v5 offset0:72 offset1:248
	v_mad_u64_u32 v[17:18], null, s11, v66, v[14:15]
	s_waitcnt lgkmcnt(1)
	v_mul_f32_e32 v9, v80, v2
	v_mul_f32_e32 v10, v80, v1
	;; [unrolled: 1-line block ×3, first 2 shown]
	v_mov_b32_e32 v14, v17
	v_mad_u64_u32 v[16:17], null, s9, v100, v[16:17]
	v_fmac_f32_e32 v9, v79, v1
	s_waitcnt lgkmcnt(0)
	v_mul_f32_e32 v11, v86, v6
	v_mul_f32_e32 v12, v86, v5
	v_fma_f32 v10, v79, v2, -v10
	v_fmac_f32_e32 v18, v77, v3
	v_cvt_f64_f32_e32 v[1:2], v9
	v_fmac_f32_e32 v11, v85, v5
	v_fma_f32 v12, v85, v6, -v12
	v_cvt_f64_f32_e32 v[9:10], v10
	v_cvt_f64_f32_e32 v[17:18], v18
	v_lshlrev_b64 v[13:14], 3, v[13:14]
	v_cvt_f64_f32_e32 v[5:6], v11
	v_cvt_f64_f32_e32 v[11:12], v12
	v_add_co_u32 v21, s0, s6, v13
	v_add_co_ci_u32_e64 v22, s0, s7, v14, s0
	v_mul_f64 v[1:2], v[1:2], s[2:3]
	v_mul_f64 v[9:10], v[9:10], s[2:3]
	v_mul_f64 v[5:6], v[5:6], s[2:3]
	v_mul_f64 v[11:12], v[11:12], s[2:3]
	v_cvt_f32_f64_e32 v19, v[1:2]
	v_mul_f32_e32 v1, v78, v3
	v_mul_f32_e32 v2, v84, v7
	v_cvt_f32_f64_e32 v20, v[9:10]
	v_lshlrev_b64 v[9:10], 3, v[15:16]
	v_fma_f32 v1, v77, v4, -v1
	v_mul_f32_e32 v4, v84, v8
	v_cvt_f32_f64_e32 v13, v[5:6]
	v_cvt_f32_f64_e32 v14, v[11:12]
	v_fma_f32 v5, v83, v8, -v2
	v_cvt_f64_f32_e32 v[15:16], v1
	v_fmac_f32_e32 v4, v83, v7
	ds_read2_b64 v[0:3], v0 offset0:32 offset1:208
	v_mul_f64 v[11:12], v[17:18], s[2:3]
	v_add_co_u32 v8, s0, v21, v9
	v_cvt_f64_f32_e32 v[17:18], v4
	v_add_co_ci_u32_e64 v9, s0, v22, v10, s0
	s_mul_i32 s0, s8, 0x3c8
	v_add_nc_u32_e32 v4, 0x2800, v99
	s_lshl_b64 s[4:5], s[0:1], 3
	v_cvt_f64_f32_e32 v[21:22], v5
	v_add_co_u32 v23, s0, v8, s4
	v_add_co_ci_u32_e64 v24, s0, s5, v9, s0
	ds_read2_b64 v[4:7], v4 offset0:40 offset1:216
	global_store_dwordx2 v[8:9], v[19:20], off
	global_store_dwordx2 v[23:24], v[13:14], off
	s_mul_hi_u32 s0, s8, 0xfffffce8
	s_mul_i32 s1, s9, 0xfffffce8
	s_waitcnt lgkmcnt(1)
	v_mul_f32_e32 v13, v82, v0
	v_mul_f64 v[9:10], v[15:16], s[2:3]
	v_mul_f32_e32 v15, v82, v1
	v_cvt_f32_f64_e32 v8, v[11:12]
	v_mul_f32_e32 v25, v68, v3
	v_fma_f32 v19, v81, v1, -v13
	ds_read_b64 v[13:14], v99 offset:5632
	v_mul_f64 v[11:12], v[17:18], s[2:3]
	ds_read_b64 v[17:18], v99 offset:13376
	v_fmac_f32_e32 v15, v81, v0
	v_cvt_f64_f32_e32 v[19:20], v19
	v_mul_f32_e32 v26, v68, v2
	v_mul_f64 v[0:1], v[21:22], s[2:3]
	v_fmac_f32_e32 v25, v67, v2
	v_cvt_f64_f32_e32 v[15:16], v15
	s_waitcnt lgkmcnt(2)
	v_mul_f32_e32 v21, v74, v5
	v_mul_f32_e32 v22, v74, v4
	;; [unrolled: 1-line block ×3, first 2 shown]
	v_fma_f32 v26, v67, v3, -v26
	s_sub_i32 s0, s0, s8
	v_fmac_f32_e32 v21, v73, v4
	v_fma_f32 v4, v73, v5, -v22
	v_fmac_f32_e32 v27, v69, v6
	v_mul_f32_e32 v6, v70, v6
	s_add_i32 s1, s0, s1
	v_cvt_f64_f32_e32 v[2:3], v21
	s_waitcnt lgkmcnt(1)
	v_mul_f32_e32 v30, v72, v13
	v_mul_f32_e32 v29, v72, v14
	s_waitcnt lgkmcnt(0)
	v_mul_f32_e32 v31, v76, v18
	v_mul_f32_e32 v32, v76, v17
	v_cvt_f64_f32_e32 v[4:5], v4
	v_fma_f32 v6, v69, v7, -v6
	v_fma_f32 v30, v71, v14, -v30
	v_fmac_f32_e32 v29, v71, v13
	v_fmac_f32_e32 v31, v75, v17
	v_fma_f32 v32, v75, v18, -v32
	v_cvt_f64_f32_e32 v[21:22], v25
	v_cvt_f64_f32_e32 v[25:26], v26
	;; [unrolled: 1-line block ×8, first 2 shown]
	v_mul_f64 v[15:16], v[15:16], s[2:3]
	v_mul_f64 v[19:20], v[19:20], s[2:3]
	s_mul_i32 s0, s8, 0xfffffce8
	v_mul_f64 v[2:3], v[2:3], s[2:3]
	s_lshl_b64 s[6:7], s[0:1], 3
	v_cvt_f32_f64_e32 v9, v[9:10]
	v_cvt_f32_f64_e32 v10, v[11:12]
	;; [unrolled: 1-line block ×3, first 2 shown]
	v_mul_f64 v[4:5], v[4:5], s[2:3]
	v_add_co_u32 v23, s0, v23, s6
	v_add_co_ci_u32_e64 v24, s0, s7, v24, s0
	v_mul_f64 v[0:1], v[21:22], s[2:3]
	v_mul_f64 v[21:22], v[25:26], s[2:3]
	;; [unrolled: 1-line block ×8, first 2 shown]
	v_add_co_u32 v31, s0, v23, s4
	v_add_co_ci_u32_e64 v32, s0, s5, v24, s0
	v_cvt_f32_f64_e32 v14, v[15:16]
	v_cvt_f32_f64_e32 v15, v[19:20]
	v_add_co_u32 v19, s0, v31, s6
	v_add_co_ci_u32_e64 v20, s0, s7, v32, s0
	v_cvt_f32_f64_e32 v2, v[2:3]
	v_cvt_f32_f64_e32 v3, v[4:5]
	v_add_co_u32 v4, s0, v19, s4
	v_add_co_ci_u32_e64 v5, s0, s5, v20, s0
	v_cvt_f32_f64_e32 v33, v[0:1]
	v_add_co_u32 v16, s0, v4, s6
	v_cvt_f32_f64_e32 v34, v[21:22]
	v_cvt_f32_f64_e32 v21, v[25:26]
	;; [unrolled: 1-line block ×4, first 2 shown]
	v_add_co_ci_u32_e64 v17, s0, s7, v5, s0
	v_cvt_f32_f64_e32 v6, v[12:13]
	v_cvt_f32_f64_e32 v12, v[27:28]
	;; [unrolled: 1-line block ×3, first 2 shown]
	global_store_dwordx2 v[23:24], v[8:9], off
	v_add_co_u32 v8, s0, v16, s4
	v_add_co_ci_u32_e64 v9, s0, s5, v17, s0
	global_store_dwordx2 v[31:32], v[10:11], off
	v_add_co_u32 v10, s0, v8, s6
	v_add_co_ci_u32_e64 v11, s0, s7, v9, s0
	;; [unrolled: 3-line block ×3, first 2 shown]
	global_store_dwordx2 v[4:5], v[2:3], off
	global_store_dwordx2 v[16:17], v[33:34], off
	global_store_dwordx2 v[8:9], v[21:22], off
	global_store_dwordx2 v[10:11], v[6:7], off
	global_store_dwordx2 v[0:1], v[12:13], off
	s_and_b32 exec_lo, exec_lo, vcc_lo
	s_cbranch_execz .LBB0_31
; %bb.30:
	s_clause 0x1
	global_load_dwordx2 v[2:3], v[64:65], off offset:896
	global_load_dwordx2 v[4:5], v[91:92], off offset:448
	ds_read_b64 v[6:7], v99 offset:7040
	ds_read_b64 v[8:9], v99 offset:14784
	v_add_co_u32 v0, vcc_lo, v0, s6
	v_add_co_ci_u32_e32 v1, vcc_lo, s7, v1, vcc_lo
	s_waitcnt vmcnt(1) lgkmcnt(1)
	v_mul_f32_e32 v10, v7, v3
	v_mul_f32_e32 v3, v6, v3
	s_waitcnt vmcnt(0) lgkmcnt(0)
	v_mul_f32_e32 v11, v9, v5
	v_mul_f32_e32 v5, v8, v5
	v_fmac_f32_e32 v10, v6, v2
	v_fma_f32 v6, v2, v7, -v3
	v_fmac_f32_e32 v11, v8, v4
	v_fma_f32 v8, v4, v9, -v5
	v_cvt_f64_f32_e32 v[2:3], v10
	v_cvt_f64_f32_e32 v[4:5], v6
	v_cvt_f64_f32_e32 v[6:7], v11
	v_cvt_f64_f32_e32 v[8:9], v8
	v_mul_f64 v[2:3], v[2:3], s[2:3]
	v_mul_f64 v[4:5], v[4:5], s[2:3]
	;; [unrolled: 1-line block ×4, first 2 shown]
	v_cvt_f32_f64_e32 v2, v[2:3]
	v_cvt_f32_f64_e32 v3, v[4:5]
	v_cvt_f32_f64_e32 v4, v[6:7]
	v_cvt_f32_f64_e32 v5, v[8:9]
	v_add_co_u32 v6, vcc_lo, v0, s4
	v_add_co_ci_u32_e32 v7, vcc_lo, s5, v1, vcc_lo
	global_store_dwordx2 v[0:1], v[2:3], off
	global_store_dwordx2 v[6:7], v[4:5], off
.LBB0_31:
	s_endpgm
	.section	.rodata,"a",@progbits
	.p2align	6, 0x0
	.amdhsa_kernel bluestein_single_fwd_len1936_dim1_sp_op_CI_CI
		.amdhsa_group_segment_fixed_size 15488
		.amdhsa_private_segment_fixed_size 0
		.amdhsa_kernarg_size 104
		.amdhsa_user_sgpr_count 6
		.amdhsa_user_sgpr_private_segment_buffer 1
		.amdhsa_user_sgpr_dispatch_ptr 0
		.amdhsa_user_sgpr_queue_ptr 0
		.amdhsa_user_sgpr_kernarg_segment_ptr 1
		.amdhsa_user_sgpr_dispatch_id 0
		.amdhsa_user_sgpr_flat_scratch_init 0
		.amdhsa_user_sgpr_private_segment_size 0
		.amdhsa_wavefront_size32 1
		.amdhsa_uses_dynamic_stack 0
		.amdhsa_system_sgpr_private_segment_wavefront_offset 0
		.amdhsa_system_sgpr_workgroup_id_x 1
		.amdhsa_system_sgpr_workgroup_id_y 0
		.amdhsa_system_sgpr_workgroup_id_z 0
		.amdhsa_system_sgpr_workgroup_info 0
		.amdhsa_system_vgpr_workitem_id 0
		.amdhsa_next_free_vgpr 220
		.amdhsa_next_free_sgpr 16
		.amdhsa_reserve_vcc 1
		.amdhsa_reserve_flat_scratch 0
		.amdhsa_float_round_mode_32 0
		.amdhsa_float_round_mode_16_64 0
		.amdhsa_float_denorm_mode_32 3
		.amdhsa_float_denorm_mode_16_64 3
		.amdhsa_dx10_clamp 1
		.amdhsa_ieee_mode 1
		.amdhsa_fp16_overflow 0
		.amdhsa_workgroup_processor_mode 1
		.amdhsa_memory_ordered 1
		.amdhsa_forward_progress 0
		.amdhsa_shared_vgpr_count 0
		.amdhsa_exception_fp_ieee_invalid_op 0
		.amdhsa_exception_fp_denorm_src 0
		.amdhsa_exception_fp_ieee_div_zero 0
		.amdhsa_exception_fp_ieee_overflow 0
		.amdhsa_exception_fp_ieee_underflow 0
		.amdhsa_exception_fp_ieee_inexact 0
		.amdhsa_exception_int_div_zero 0
	.end_amdhsa_kernel
	.text
.Lfunc_end0:
	.size	bluestein_single_fwd_len1936_dim1_sp_op_CI_CI, .Lfunc_end0-bluestein_single_fwd_len1936_dim1_sp_op_CI_CI
                                        ; -- End function
	.section	.AMDGPU.csdata,"",@progbits
; Kernel info:
; codeLenInByte = 15580
; NumSgprs: 18
; NumVgprs: 220
; ScratchSize: 0
; MemoryBound: 0
; FloatMode: 240
; IeeeMode: 1
; LDSByteSize: 15488 bytes/workgroup (compile time only)
; SGPRBlocks: 2
; VGPRBlocks: 27
; NumSGPRsForWavesPerEU: 18
; NumVGPRsForWavesPerEU: 220
; Occupancy: 4
; WaveLimiterHint : 1
; COMPUTE_PGM_RSRC2:SCRATCH_EN: 0
; COMPUTE_PGM_RSRC2:USER_SGPR: 6
; COMPUTE_PGM_RSRC2:TRAP_HANDLER: 0
; COMPUTE_PGM_RSRC2:TGID_X_EN: 1
; COMPUTE_PGM_RSRC2:TGID_Y_EN: 0
; COMPUTE_PGM_RSRC2:TGID_Z_EN: 0
; COMPUTE_PGM_RSRC2:TIDIG_COMP_CNT: 0
	.text
	.p2alignl 6, 3214868480
	.fill 48, 4, 3214868480
	.type	__hip_cuid_d2e16f2e3d0d17bc,@object ; @__hip_cuid_d2e16f2e3d0d17bc
	.section	.bss,"aw",@nobits
	.globl	__hip_cuid_d2e16f2e3d0d17bc
__hip_cuid_d2e16f2e3d0d17bc:
	.byte	0                               ; 0x0
	.size	__hip_cuid_d2e16f2e3d0d17bc, 1

	.ident	"AMD clang version 19.0.0git (https://github.com/RadeonOpenCompute/llvm-project roc-6.4.0 25133 c7fe45cf4b819c5991fe208aaa96edf142730f1d)"
	.section	".note.GNU-stack","",@progbits
	.addrsig
	.addrsig_sym __hip_cuid_d2e16f2e3d0d17bc
	.amdgpu_metadata
---
amdhsa.kernels:
  - .args:
      - .actual_access:  read_only
        .address_space:  global
        .offset:         0
        .size:           8
        .value_kind:     global_buffer
      - .actual_access:  read_only
        .address_space:  global
        .offset:         8
        .size:           8
        .value_kind:     global_buffer
      - .actual_access:  read_only
        .address_space:  global
        .offset:         16
        .size:           8
        .value_kind:     global_buffer
      - .actual_access:  read_only
        .address_space:  global
        .offset:         24
        .size:           8
        .value_kind:     global_buffer
      - .actual_access:  read_only
        .address_space:  global
        .offset:         32
        .size:           8
        .value_kind:     global_buffer
      - .offset:         40
        .size:           8
        .value_kind:     by_value
      - .address_space:  global
        .offset:         48
        .size:           8
        .value_kind:     global_buffer
      - .address_space:  global
        .offset:         56
        .size:           8
        .value_kind:     global_buffer
      - .address_space:  global
        .offset:         64
        .size:           8
        .value_kind:     global_buffer
      - .address_space:  global
        .offset:         72
        .size:           8
        .value_kind:     global_buffer
      - .offset:         80
        .size:           4
        .value_kind:     by_value
      - .address_space:  global
        .offset:         88
        .size:           8
        .value_kind:     global_buffer
      - .address_space:  global
        .offset:         96
        .size:           8
        .value_kind:     global_buffer
    .group_segment_fixed_size: 15488
    .kernarg_segment_align: 8
    .kernarg_segment_size: 104
    .language:       OpenCL C
    .language_version:
      - 2
      - 0
    .max_flat_workgroup_size: 176
    .name:           bluestein_single_fwd_len1936_dim1_sp_op_CI_CI
    .private_segment_fixed_size: 0
    .sgpr_count:     18
    .sgpr_spill_count: 0
    .symbol:         bluestein_single_fwd_len1936_dim1_sp_op_CI_CI.kd
    .uniform_work_group_size: 1
    .uses_dynamic_stack: false
    .vgpr_count:     220
    .vgpr_spill_count: 0
    .wavefront_size: 32
    .workgroup_processor_mode: 1
amdhsa.target:   amdgcn-amd-amdhsa--gfx1030
amdhsa.version:
  - 1
  - 2
...

	.end_amdgpu_metadata
